;; amdgpu-corpus repo=ROCm/rocFFT kind=compiled arch=gfx1201 opt=O3
	.text
	.amdgcn_target "amdgcn-amd-amdhsa--gfx1201"
	.amdhsa_code_object_version 6
	.protected	fft_rtc_fwd_len1430_factors_13_11_10_wgs_143_tpt_143_sp_op_CI_CI_unitstride_sbrr_R2C_dirReg ; -- Begin function fft_rtc_fwd_len1430_factors_13_11_10_wgs_143_tpt_143_sp_op_CI_CI_unitstride_sbrr_R2C_dirReg
	.globl	fft_rtc_fwd_len1430_factors_13_11_10_wgs_143_tpt_143_sp_op_CI_CI_unitstride_sbrr_R2C_dirReg
	.p2align	8
	.type	fft_rtc_fwd_len1430_factors_13_11_10_wgs_143_tpt_143_sp_op_CI_CI_unitstride_sbrr_R2C_dirReg,@function
fft_rtc_fwd_len1430_factors_13_11_10_wgs_143_tpt_143_sp_op_CI_CI_unitstride_sbrr_R2C_dirReg: ; @fft_rtc_fwd_len1430_factors_13_11_10_wgs_143_tpt_143_sp_op_CI_CI_unitstride_sbrr_R2C_dirReg
; %bb.0:
	s_clause 0x2
	s_load_b128 s[8:11], s[0:1], 0x0
	s_load_b128 s[4:7], s[0:1], 0x58
	;; [unrolled: 1-line block ×3, first 2 shown]
	v_mul_u32_u24_e32 v1, 0x1cb, v0
	v_mov_b32_e32 v3, 0
	s_delay_alu instid0(VALU_DEP_2) | instskip(NEXT) | instid1(VALU_DEP_1)
	v_lshrrev_b32_e32 v1, 16, v1
	v_add_nc_u32_e32 v5, ttmp9, v1
	v_mov_b32_e32 v1, 0
	v_mov_b32_e32 v2, 0
	;; [unrolled: 1-line block ×3, first 2 shown]
	s_wait_kmcnt 0x0
	v_cmp_lt_u64_e64 s2, s[10:11], 2
	s_delay_alu instid0(VALU_DEP_1)
	s_and_b32 vcc_lo, exec_lo, s2
	s_cbranch_vccnz .LBB0_8
; %bb.1:
	s_load_b64 s[2:3], s[0:1], 0x10
	v_mov_b32_e32 v1, 0
	v_mov_b32_e32 v2, 0
	s_add_nc_u64 s[16:17], s[14:15], 8
	s_add_nc_u64 s[18:19], s[12:13], 8
	s_mov_b64 s[20:21], 1
	s_delay_alu instid0(VALU_DEP_1)
	v_dual_mov_b32 v23, v2 :: v_dual_mov_b32 v22, v1
	s_wait_kmcnt 0x0
	s_add_nc_u64 s[22:23], s[2:3], 8
	s_mov_b32 s3, 0
.LBB0_2:                                ; =>This Inner Loop Header: Depth=1
	s_load_b64 s[24:25], s[22:23], 0x0
                                        ; implicit-def: $vgpr26_vgpr27
	s_mov_b32 s2, exec_lo
	s_wait_kmcnt 0x0
	v_or_b32_e32 v4, s25, v6
	s_delay_alu instid0(VALU_DEP_1)
	v_cmpx_ne_u64_e32 0, v[3:4]
	s_wait_alu 0xfffe
	s_xor_b32 s26, exec_lo, s2
	s_cbranch_execz .LBB0_4
; %bb.3:                                ;   in Loop: Header=BB0_2 Depth=1
	s_cvt_f32_u32 s2, s24
	s_cvt_f32_u32 s27, s25
	s_sub_nc_u64 s[30:31], 0, s[24:25]
	s_wait_alu 0xfffe
	s_delay_alu instid0(SALU_CYCLE_1) | instskip(SKIP_1) | instid1(SALU_CYCLE_2)
	s_fmamk_f32 s2, s27, 0x4f800000, s2
	s_wait_alu 0xfffe
	v_s_rcp_f32 s2, s2
	s_delay_alu instid0(TRANS32_DEP_1) | instskip(SKIP_1) | instid1(SALU_CYCLE_2)
	s_mul_f32 s2, s2, 0x5f7ffffc
	s_wait_alu 0xfffe
	s_mul_f32 s27, s2, 0x2f800000
	s_wait_alu 0xfffe
	s_delay_alu instid0(SALU_CYCLE_2) | instskip(SKIP_1) | instid1(SALU_CYCLE_2)
	s_trunc_f32 s27, s27
	s_wait_alu 0xfffe
	s_fmamk_f32 s2, s27, 0xcf800000, s2
	s_cvt_u32_f32 s29, s27
	s_wait_alu 0xfffe
	s_delay_alu instid0(SALU_CYCLE_1) | instskip(SKIP_1) | instid1(SALU_CYCLE_2)
	s_cvt_u32_f32 s28, s2
	s_wait_alu 0xfffe
	s_mul_u64 s[34:35], s[30:31], s[28:29]
	s_wait_alu 0xfffe
	s_mul_hi_u32 s37, s28, s35
	s_mul_i32 s36, s28, s35
	s_mul_hi_u32 s2, s28, s34
	s_mul_i32 s33, s29, s34
	s_wait_alu 0xfffe
	s_add_nc_u64 s[36:37], s[2:3], s[36:37]
	s_mul_hi_u32 s27, s29, s34
	s_mul_hi_u32 s38, s29, s35
	s_add_co_u32 s2, s36, s33
	s_wait_alu 0xfffe
	s_add_co_ci_u32 s2, s37, s27
	s_mul_i32 s34, s29, s35
	s_add_co_ci_u32 s35, s38, 0
	s_wait_alu 0xfffe
	s_add_nc_u64 s[34:35], s[2:3], s[34:35]
	s_wait_alu 0xfffe
	v_add_co_u32 v4, s2, s28, s34
	s_delay_alu instid0(VALU_DEP_1) | instskip(SKIP_1) | instid1(VALU_DEP_1)
	s_cmp_lg_u32 s2, 0
	s_add_co_ci_u32 s29, s29, s35
	v_readfirstlane_b32 s28, v4
	s_wait_alu 0xfffe
	s_delay_alu instid0(VALU_DEP_1)
	s_mul_u64 s[30:31], s[30:31], s[28:29]
	s_wait_alu 0xfffe
	s_mul_hi_u32 s35, s28, s31
	s_mul_i32 s34, s28, s31
	s_mul_hi_u32 s2, s28, s30
	s_mul_i32 s33, s29, s30
	s_wait_alu 0xfffe
	s_add_nc_u64 s[34:35], s[2:3], s[34:35]
	s_mul_hi_u32 s27, s29, s30
	s_mul_hi_u32 s28, s29, s31
	s_wait_alu 0xfffe
	s_add_co_u32 s2, s34, s33
	s_add_co_ci_u32 s2, s35, s27
	s_mul_i32 s30, s29, s31
	s_add_co_ci_u32 s31, s28, 0
	s_wait_alu 0xfffe
	s_add_nc_u64 s[30:31], s[2:3], s[30:31]
	s_wait_alu 0xfffe
	v_add_co_u32 v4, s2, v4, s30
	s_delay_alu instid0(VALU_DEP_1) | instskip(SKIP_1) | instid1(VALU_DEP_1)
	s_cmp_lg_u32 s2, 0
	s_add_co_ci_u32 s2, s29, s31
	v_mul_hi_u32 v13, v5, v4
	s_wait_alu 0xfffe
	v_mad_co_u64_u32 v[7:8], null, v5, s2, 0
	v_mad_co_u64_u32 v[9:10], null, v6, v4, 0
	;; [unrolled: 1-line block ×3, first 2 shown]
	s_delay_alu instid0(VALU_DEP_3) | instskip(SKIP_1) | instid1(VALU_DEP_4)
	v_add_co_u32 v4, vcc_lo, v13, v7
	s_wait_alu 0xfffd
	v_add_co_ci_u32_e32 v7, vcc_lo, 0, v8, vcc_lo
	s_delay_alu instid0(VALU_DEP_2) | instskip(SKIP_1) | instid1(VALU_DEP_2)
	v_add_co_u32 v4, vcc_lo, v4, v9
	s_wait_alu 0xfffd
	v_add_co_ci_u32_e32 v4, vcc_lo, v7, v10, vcc_lo
	s_wait_alu 0xfffd
	v_add_co_ci_u32_e32 v7, vcc_lo, 0, v12, vcc_lo
	s_delay_alu instid0(VALU_DEP_2) | instskip(SKIP_1) | instid1(VALU_DEP_2)
	v_add_co_u32 v4, vcc_lo, v4, v11
	s_wait_alu 0xfffd
	v_add_co_ci_u32_e32 v9, vcc_lo, 0, v7, vcc_lo
	s_delay_alu instid0(VALU_DEP_2) | instskip(SKIP_1) | instid1(VALU_DEP_3)
	v_mul_lo_u32 v10, s25, v4
	v_mad_co_u64_u32 v[7:8], null, s24, v4, 0
	v_mul_lo_u32 v11, s24, v9
	s_delay_alu instid0(VALU_DEP_2) | instskip(NEXT) | instid1(VALU_DEP_2)
	v_sub_co_u32 v7, vcc_lo, v5, v7
	v_add3_u32 v8, v8, v11, v10
	s_delay_alu instid0(VALU_DEP_1) | instskip(SKIP_1) | instid1(VALU_DEP_1)
	v_sub_nc_u32_e32 v10, v6, v8
	s_wait_alu 0xfffd
	v_subrev_co_ci_u32_e64 v10, s2, s25, v10, vcc_lo
	v_add_co_u32 v11, s2, v4, 2
	s_wait_alu 0xf1ff
	v_add_co_ci_u32_e64 v12, s2, 0, v9, s2
	v_sub_co_u32 v13, s2, v7, s24
	v_sub_co_ci_u32_e32 v8, vcc_lo, v6, v8, vcc_lo
	s_wait_alu 0xf1ff
	v_subrev_co_ci_u32_e64 v10, s2, 0, v10, s2
	s_delay_alu instid0(VALU_DEP_3) | instskip(NEXT) | instid1(VALU_DEP_3)
	v_cmp_le_u32_e32 vcc_lo, s24, v13
	v_cmp_eq_u32_e64 s2, s25, v8
	s_wait_alu 0xfffd
	v_cndmask_b32_e64 v13, 0, -1, vcc_lo
	v_cmp_le_u32_e32 vcc_lo, s25, v10
	s_wait_alu 0xfffd
	v_cndmask_b32_e64 v14, 0, -1, vcc_lo
	v_cmp_le_u32_e32 vcc_lo, s24, v7
	;; [unrolled: 3-line block ×3, first 2 shown]
	s_wait_alu 0xfffd
	v_cndmask_b32_e64 v15, 0, -1, vcc_lo
	v_cmp_eq_u32_e32 vcc_lo, s25, v10
	s_wait_alu 0xf1ff
	s_delay_alu instid0(VALU_DEP_2)
	v_cndmask_b32_e64 v7, v15, v7, s2
	s_wait_alu 0xfffd
	v_cndmask_b32_e32 v10, v14, v13, vcc_lo
	v_add_co_u32 v13, vcc_lo, v4, 1
	s_wait_alu 0xfffd
	v_add_co_ci_u32_e32 v14, vcc_lo, 0, v9, vcc_lo
	s_delay_alu instid0(VALU_DEP_3) | instskip(SKIP_1) | instid1(VALU_DEP_2)
	v_cmp_ne_u32_e32 vcc_lo, 0, v10
	s_wait_alu 0xfffd
	v_cndmask_b32_e32 v8, v14, v12, vcc_lo
	v_cndmask_b32_e32 v10, v13, v11, vcc_lo
	v_cmp_ne_u32_e32 vcc_lo, 0, v7
	s_wait_alu 0xfffd
	s_delay_alu instid0(VALU_DEP_2)
	v_dual_cndmask_b32 v27, v9, v8 :: v_dual_cndmask_b32 v26, v4, v10
.LBB0_4:                                ;   in Loop: Header=BB0_2 Depth=1
	s_wait_alu 0xfffe
	s_and_not1_saveexec_b32 s2, s26
	s_cbranch_execz .LBB0_6
; %bb.5:                                ;   in Loop: Header=BB0_2 Depth=1
	v_cvt_f32_u32_e32 v4, s24
	s_sub_co_i32 s26, 0, s24
	v_mov_b32_e32 v27, v3
	s_delay_alu instid0(VALU_DEP_2) | instskip(NEXT) | instid1(TRANS32_DEP_1)
	v_rcp_iflag_f32_e32 v4, v4
	v_mul_f32_e32 v4, 0x4f7ffffe, v4
	s_delay_alu instid0(VALU_DEP_1) | instskip(SKIP_1) | instid1(VALU_DEP_1)
	v_cvt_u32_f32_e32 v4, v4
	s_wait_alu 0xfffe
	v_mul_lo_u32 v7, s26, v4
	s_delay_alu instid0(VALU_DEP_1) | instskip(NEXT) | instid1(VALU_DEP_1)
	v_mul_hi_u32 v7, v4, v7
	v_add_nc_u32_e32 v4, v4, v7
	s_delay_alu instid0(VALU_DEP_1) | instskip(NEXT) | instid1(VALU_DEP_1)
	v_mul_hi_u32 v4, v5, v4
	v_mul_lo_u32 v7, v4, s24
	v_add_nc_u32_e32 v8, 1, v4
	s_delay_alu instid0(VALU_DEP_2) | instskip(NEXT) | instid1(VALU_DEP_1)
	v_sub_nc_u32_e32 v7, v5, v7
	v_subrev_nc_u32_e32 v9, s24, v7
	v_cmp_le_u32_e32 vcc_lo, s24, v7
	s_wait_alu 0xfffd
	s_delay_alu instid0(VALU_DEP_2) | instskip(NEXT) | instid1(VALU_DEP_1)
	v_dual_cndmask_b32 v7, v7, v9 :: v_dual_cndmask_b32 v4, v4, v8
	v_cmp_le_u32_e32 vcc_lo, s24, v7
	s_delay_alu instid0(VALU_DEP_2) | instskip(SKIP_1) | instid1(VALU_DEP_1)
	v_add_nc_u32_e32 v8, 1, v4
	s_wait_alu 0xfffd
	v_cndmask_b32_e32 v26, v4, v8, vcc_lo
.LBB0_6:                                ;   in Loop: Header=BB0_2 Depth=1
	s_wait_alu 0xfffe
	s_or_b32 exec_lo, exec_lo, s2
	v_mul_lo_u32 v4, v27, s24
	s_delay_alu instid0(VALU_DEP_2)
	v_mul_lo_u32 v9, v26, s25
	s_load_b64 s[26:27], s[18:19], 0x0
	v_mad_co_u64_u32 v[7:8], null, v26, s24, 0
	s_load_b64 s[24:25], s[16:17], 0x0
	s_add_nc_u64 s[20:21], s[20:21], 1
	s_add_nc_u64 s[16:17], s[16:17], 8
	s_wait_alu 0xfffe
	v_cmp_ge_u64_e64 s2, s[20:21], s[10:11]
	s_add_nc_u64 s[18:19], s[18:19], 8
	s_add_nc_u64 s[22:23], s[22:23], 8
	v_add3_u32 v4, v8, v9, v4
	v_sub_co_u32 v5, vcc_lo, v5, v7
	s_wait_alu 0xfffd
	s_delay_alu instid0(VALU_DEP_2) | instskip(SKIP_2) | instid1(VALU_DEP_1)
	v_sub_co_ci_u32_e32 v4, vcc_lo, v6, v4, vcc_lo
	s_and_b32 vcc_lo, exec_lo, s2
	s_wait_kmcnt 0x0
	v_mul_lo_u32 v6, s26, v4
	v_mul_lo_u32 v7, s27, v5
	v_mad_co_u64_u32 v[1:2], null, s26, v5, v[1:2]
	v_mul_lo_u32 v4, s24, v4
	v_mul_lo_u32 v8, s25, v5
	v_mad_co_u64_u32 v[22:23], null, s24, v5, v[22:23]
	s_delay_alu instid0(VALU_DEP_4) | instskip(NEXT) | instid1(VALU_DEP_2)
	v_add3_u32 v2, v7, v2, v6
	v_add3_u32 v23, v8, v23, v4
	s_wait_alu 0xfffe
	s_cbranch_vccnz .LBB0_9
; %bb.7:                                ;   in Loop: Header=BB0_2 Depth=1
	v_dual_mov_b32 v5, v26 :: v_dual_mov_b32 v6, v27
	s_branch .LBB0_2
.LBB0_8:
	v_dual_mov_b32 v23, v2 :: v_dual_mov_b32 v22, v1
	v_dual_mov_b32 v27, v6 :: v_dual_mov_b32 v26, v5
.LBB0_9:
	s_load_b64 s[0:1], s[0:1], 0x28
	v_mul_hi_u32 v3, 0x1ca4b31, v0
                                        ; implicit-def: $vgpr24
	s_wait_kmcnt 0x0
	s_delay_alu instid0(VALU_DEP_2) | instskip(SKIP_1) | instid1(VALU_DEP_1)
	v_cmp_gt_u64_e32 vcc_lo, s[0:1], v[26:27]
	v_cmp_le_u64_e64 s0, s[0:1], v[26:27]
	s_and_saveexec_b32 s1, s0
	s_wait_alu 0xfffe
	s_xor_b32 s0, exec_lo, s1
; %bb.10:
	s_delay_alu instid0(VALU_DEP_3) | instskip(NEXT) | instid1(VALU_DEP_1)
	v_mul_u32_u24_e32 v1, 0x8f, v3
                                        ; implicit-def: $vgpr3
	v_sub_nc_u32_e32 v24, v0, v1
                                        ; implicit-def: $vgpr0
                                        ; implicit-def: $vgpr1_vgpr2
; %bb.11:
	s_wait_alu 0xfffe
	s_and_not1_saveexec_b32 s1, s0
	s_cbranch_execz .LBB0_13
; %bb.12:
	s_lshl_b64 s[2:3], s[10:11], 3
	v_lshlrev_b64_e32 v[1:2], 3, v[1:2]
	s_wait_alu 0xfffe
	s_add_nc_u64 s[2:3], s[12:13], s[2:3]
	s_load_b64 s[2:3], s[2:3], 0x0
	s_wait_kmcnt 0x0
	v_mul_lo_u32 v6, s3, v26
	v_mul_lo_u32 v7, s2, v27
	v_mad_co_u64_u32 v[4:5], null, s2, v26, 0
	s_delay_alu instid0(VALU_DEP_1) | instskip(SKIP_1) | instid1(VALU_DEP_2)
	v_add3_u32 v5, v5, v7, v6
	v_mul_u32_u24_e32 v6, 0x8f, v3
	v_lshlrev_b64_e32 v[3:4], 3, v[4:5]
	s_delay_alu instid0(VALU_DEP_2) | instskip(NEXT) | instid1(VALU_DEP_1)
	v_sub_nc_u32_e32 v24, v0, v6
	v_lshlrev_b32_e32 v20, 3, v24
	s_delay_alu instid0(VALU_DEP_3) | instskip(SKIP_1) | instid1(VALU_DEP_4)
	v_add_co_u32 v0, s0, s4, v3
	s_wait_alu 0xf1ff
	v_add_co_ci_u32_e64 v3, s0, s5, v4, s0
	s_delay_alu instid0(VALU_DEP_2) | instskip(SKIP_1) | instid1(VALU_DEP_2)
	v_add_co_u32 v0, s0, v0, v1
	s_wait_alu 0xf1ff
	v_add_co_ci_u32_e64 v1, s0, v3, v2, s0
	s_delay_alu instid0(VALU_DEP_2) | instskip(SKIP_1) | instid1(VALU_DEP_2)
	v_add_co_u32 v0, s0, v0, v20
	s_wait_alu 0xf1ff
	v_add_co_ci_u32_e64 v1, s0, 0, v1, s0
	s_clause 0x9
	global_load_b64 v[2:3], v[0:1], off
	global_load_b64 v[4:5], v[0:1], off offset:1144
	global_load_b64 v[6:7], v[0:1], off offset:2288
	global_load_b64 v[8:9], v[0:1], off offset:3432
	global_load_b64 v[10:11], v[0:1], off offset:4576
	global_load_b64 v[12:13], v[0:1], off offset:5720
	global_load_b64 v[14:15], v[0:1], off offset:6864
	global_load_b64 v[16:17], v[0:1], off offset:8008
	global_load_b64 v[18:19], v[0:1], off offset:9152
	global_load_b64 v[0:1], v[0:1], off offset:10296
	v_add_nc_u32_e32 v20, 0, v20
	s_delay_alu instid0(VALU_DEP_1)
	v_add_nc_u32_e32 v21, 0x800, v20
	v_add_nc_u32_e32 v25, 0x1000, v20
	;; [unrolled: 1-line block ×4, first 2 shown]
	s_wait_loadcnt 0x8
	ds_store_2addr_b64 v20, v[2:3], v[4:5] offset1:143
	s_wait_loadcnt 0x6
	ds_store_2addr_b64 v21, v[6:7], v[8:9] offset0:30 offset1:173
	s_wait_loadcnt 0x4
	ds_store_2addr_b64 v25, v[10:11], v[12:13] offset0:60 offset1:203
	;; [unrolled: 2-line block ×4, first 2 shown]
.LBB0_13:
	s_wait_alu 0xfffe
	s_or_b32 exec_lo, exec_lo, s1
	v_lshl_add_u32 v30, v24, 3, 0
	global_wb scope:SCOPE_SE
	s_wait_dscnt 0x0
	s_barrier_signal -1
	s_barrier_wait -1
	global_inv scope:SCOPE_SE
	ds_load_2addr_b64 v[4:7], v30 offset1:110
	v_add_nc_u32_e32 v2, 0x400, v30
	s_mov_b32 s1, exec_lo
	ds_load_b64 v[0:1], v30 offset:10560
	ds_load_2addr_b64 v[12:15], v2 offset0:92 offset1:202
	v_add_nc_u32_e32 v2, 0xc00, v30
	v_add_nc_u32_e32 v3, 0x1400, v30
	;; [unrolled: 1-line block ×4, first 2 shown]
	s_wait_dscnt 0x1
	v_sub_f32_e32 v35, v6, v0
	ds_load_2addr_b64 v[16:19], v2 offset0:56 offset1:166
	ds_load_2addr_b64 v[8:11], v3 offset0:20 offset1:130
	;; [unrolled: 1-line block ×4, first 2 shown]
	v_dual_add_f32 v3, v5, v7 :: v_dual_add_f32 v2, v4, v6
	v_dual_sub_f32 v20, v7, v1 :: v_dual_add_f32 v7, v1, v7
	s_wait_dscnt 0x4
	s_delay_alu instid0(VALU_DEP_2) | instskip(NEXT) | instid1(VALU_DEP_3)
	v_dual_add_f32 v34, v0, v6 :: v_dual_add_f32 v3, v3, v13
	v_add_f32_e32 v2, v2, v12
	s_delay_alu instid0(VALU_DEP_3) | instskip(SKIP_1) | instid1(VALU_DEP_4)
	v_mul_f32_e32 v25, 0xbeedf032, v20
	v_mul_f32_e32 v31, 0x3f62ad3f, v7
	v_dual_mul_f32 v32, 0xbf52af12, v20 :: v_dual_add_f32 v3, v3, v15
	s_delay_alu instid0(VALU_DEP_4) | instskip(SKIP_3) | instid1(VALU_DEP_3)
	v_dual_add_f32 v2, v2, v14 :: v_dual_mul_f32 v33, 0x3f116cb1, v7
	v_dual_mul_f32 v6, 0xbf7e222b, v20 :: v_dual_mul_f32 v21, 0xbf7e222b, v35
	v_dual_mul_f32 v28, 0xbf6f5d39, v20 :: v_dual_mul_f32 v29, 0xbf6f5d39, v35
	s_wait_dscnt 0x3
	v_dual_add_f32 v2, v2, v16 :: v_dual_fmamk_f32 v39, v35, 0xbeedf032, v31
	v_add_f32_e32 v3, v3, v17
	v_fma_f32 v42, 0x3df6dbef, v34, -v6
	v_fmac_f32_e32 v6, 0x3df6dbef, v34
	s_delay_alu instid0(VALU_DEP_4) | instskip(NEXT) | instid1(VALU_DEP_4)
	v_dual_add_f32 v2, v2, v18 :: v_dual_fmamk_f32 v41, v35, 0xbf52af12, v33
	v_add_f32_e32 v3, v3, v19
	v_fma_f32 v48, 0xbeb58ec6, v34, -v28
	v_fmac_f32_e32 v28, 0xbeb58ec6, v34
	s_wait_dscnt 0x2
	v_dual_add_f32 v2, v2, v8 :: v_dual_fmamk_f32 v47, v7, 0x3df6dbef, v21
	v_fma_f32 v38, 0x3f62ad3f, v34, -v25
	v_fma_f32 v40, 0x3f116cb1, v34, -v32
	v_dual_mul_f32 v36, 0xbf29c268, v20 :: v_dual_mul_f32 v37, 0xbf29c268, v35
	s_delay_alu instid0(VALU_DEP_4) | instskip(SKIP_3) | instid1(VALU_DEP_3)
	v_dual_add_f32 v2, v2, v10 :: v_dual_add_f32 v3, v3, v9
	v_dual_add_f32 v54, v5, v41 :: v_dual_fmamk_f32 v49, v7, 0xbeb58ec6, v29
	v_add_f32_e32 v52, v5, v39
	s_wait_dscnt 0x1
	v_add_f32_e32 v2, v2, v55
	v_add_f32_e32 v3, v3, v11
	v_add_f32_e32 v51, v4, v38
	v_add_f32_e32 v42, v4, v42
	v_fma_f32 v29, 0xbeb58ec6, v7, -v29
	s_delay_alu instid0(VALU_DEP_4)
	v_dual_add_f32 v2, v2, v57 :: v_dual_add_f32 v3, v3, v56
	v_add_f32_e32 v53, v4, v40
	v_add_f32_e32 v48, v4, v48
	v_fma_f32 v50, 0xbf3f9e67, v34, -v36
	s_wait_dscnt 0x0
	v_dual_add_f32 v2, v2, v43 :: v_dual_add_f32 v3, v3, v58
	v_add_f32_e32 v29, v5, v29
	v_dual_sub_f32 v63, v13, v46 :: v_dual_sub_f32 v40, v12, v45
	s_delay_alu instid0(VALU_DEP_3) | instskip(SKIP_2) | instid1(VALU_DEP_3)
	v_dual_add_f32 v2, v2, v45 :: v_dual_add_f32 v3, v3, v44
	v_fma_f32 v21, 0x3df6dbef, v7, -v21
	v_dual_add_f32 v47, v5, v47 :: v_dual_add_f32 v6, v4, v6
	v_dual_add_f32 v0, v2, v0 :: v_dual_add_f32 v3, v3, v46
	v_fmac_f32_e32 v36, 0xbf3f9e67, v34
	v_mul_f32_e32 v2, 0xbe750f2a, v20
	v_fmamk_f32 v20, v7, 0xbf3f9e67, v37
	v_fma_f32 v37, 0xbf3f9e67, v7, -v37
	v_add_f32_e32 v1, v3, v1
	v_add_f32_e32 v59, v4, v36
	s_delay_alu instid0(VALU_DEP_4) | instskip(SKIP_2) | instid1(VALU_DEP_3)
	v_dual_mul_f32 v3, 0xbe750f2a, v35 :: v_dual_add_f32 v20, v5, v20
	v_fma_f32 v38, 0xbf788fa5, v34, -v2
	v_add_f32_e32 v60, v5, v37
	v_dual_fmac_f32 v2, 0xbf788fa5, v34 :: v_dual_fmamk_f32 v39, v7, 0xbf788fa5, v3
	v_fma_f32 v3, 0xbf788fa5, v7, -v3
	s_delay_alu instid0(VALU_DEP_4) | instskip(SKIP_1) | instid1(VALU_DEP_4)
	v_add_f32_e32 v61, v4, v38
	v_dual_add_f32 v7, v46, v13 :: v_dual_mul_f32 v36, 0xbf52af12, v63
	v_add_f32_e32 v62, v5, v39
	v_add_f32_e32 v39, v45, v12
	v_mul_f32_e32 v13, 0xbe750f2a, v63
	s_delay_alu instid0(VALU_DEP_4) | instskip(SKIP_1) | instid1(VALU_DEP_4)
	v_mul_f32_e32 v37, 0x3f116cb1, v7
	v_dual_add_f32 v21, v5, v21 :: v_dual_add_f32 v28, v4, v28
	v_fma_f32 v12, 0x3f116cb1, v39, -v36
	s_delay_alu instid0(VALU_DEP_4)
	v_fma_f32 v64, 0xbf788fa5, v39, -v13
	v_mul_f32_e32 v41, 0xbeb58ec6, v7
	v_mul_f32_e32 v38, 0xbf6f5d39, v63
	v_fmamk_f32 v45, v40, 0xbf52af12, v37
	v_dual_add_f32 v12, v12, v51 :: v_dual_add_f32 v49, v5, v49
	v_add_f32_e32 v50, v4, v50
	v_fmamk_f32 v51, v40, 0xbf6f5d39, v41
	v_fma_f32 v46, 0xbeb58ec6, v39, -v38
	v_add_f32_e32 v52, v45, v52
	v_dual_mul_f32 v45, 0xbe750f2a, v40 :: v_dual_add_f32 v2, v4, v2
	v_add_f32_e32 v3, v5, v3
	s_delay_alu instid0(VALU_DEP_4)
	v_add_f32_e32 v53, v46, v53
	v_add_f32_e32 v51, v51, v54
	;; [unrolled: 1-line block ×3, first 2 shown]
	v_mul_f32_e32 v64, 0x3f29c268, v40
	v_mul_f32_e32 v42, 0x3f29c268, v63
	v_fmamk_f32 v46, v7, 0xbf788fa5, v45
	v_fma_f32 v45, 0xbf788fa5, v7, -v45
	global_wb scope:SCOPE_SE
	s_barrier_signal -1
	v_fma_f32 v65, 0xbf3f9e67, v39, -v42
	v_fmac_f32_e32 v42, 0xbf3f9e67, v39
	s_barrier_wait -1
	global_inv scope:SCOPE_SE
	v_dual_add_f32 v75, v11, v9 :: v_dual_add_f32 v48, v65, v48
	v_dual_fmac_f32 v13, 0xbf788fa5, v39 :: v_dual_add_f32 v28, v42, v28
	v_sub_f32_e32 v74, v9, v11
	s_delay_alu instid0(VALU_DEP_2) | instskip(SKIP_4) | instid1(VALU_DEP_2)
	v_add_f32_e32 v6, v13, v6
	v_add_f32_e32 v13, v45, v21
	v_dual_fmamk_f32 v21, v7, 0xbf3f9e67, v64 :: v_dual_add_f32 v66, v46, v47
	v_mul_f32_e32 v47, 0x3f7e222b, v40
	v_fma_f32 v46, 0xbf3f9e67, v7, -v64
	v_dual_add_f32 v21, v21, v49 :: v_dual_fmamk_f32 v42, v7, 0x3df6dbef, v47
	v_mul_f32_e32 v45, 0x3f7e222b, v63
	s_delay_alu instid0(VALU_DEP_3) | instskip(NEXT) | instid1(VALU_DEP_3)
	v_dual_add_f32 v29, v46, v29 :: v_dual_mul_f32 v46, 0x3eedf032, v63
	v_add_f32_e32 v20, v42, v20
	s_delay_alu instid0(VALU_DEP_3) | instskip(NEXT) | instid1(VALU_DEP_1)
	v_fma_f32 v49, 0x3df6dbef, v39, -v45
	v_add_f32_e32 v49, v49, v50
	s_delay_alu instid0(VALU_DEP_4) | instskip(SKIP_1) | instid1(VALU_DEP_2)
	v_fma_f32 v50, 0x3f62ad3f, v39, -v46
	v_fmac_f32_e32 v46, 0x3f62ad3f, v39
	v_add_f32_e32 v50, v50, v61
	v_fma_f32 v47, 0x3df6dbef, v7, -v47
	v_fmac_f32_e32 v45, 0x3df6dbef, v39
	v_sub_f32_e32 v61, v15, v44
	v_dual_add_f32 v15, v44, v15 :: v_dual_add_f32 v2, v46, v2
	s_delay_alu instid0(VALU_DEP_4) | instskip(NEXT) | instid1(VALU_DEP_4)
	v_add_f32_e32 v60, v47, v60
	v_dual_mul_f32 v42, 0x3eedf032, v40 :: v_dual_add_f32 v59, v45, v59
	s_delay_alu instid0(VALU_DEP_4) | instskip(NEXT) | instid1(VALU_DEP_2)
	v_dual_add_f32 v45, v43, v14 :: v_dual_mul_f32 v44, 0xbe750f2a, v61
	v_fmamk_f32 v47, v7, 0x3f62ad3f, v42
	v_fma_f32 v7, 0x3f62ad3f, v7, -v42
	v_mul_f32_e32 v42, 0xbf7e222b, v61
	s_delay_alu instid0(VALU_DEP_4) | instskip(NEXT) | instid1(VALU_DEP_4)
	v_fma_f32 v63, 0xbf788fa5, v45, -v44
	v_add_f32_e32 v62, v47, v62
	s_delay_alu instid0(VALU_DEP_4) | instskip(NEXT) | instid1(VALU_DEP_4)
	v_add_f32_e32 v3, v7, v3
	v_fma_f32 v7, 0x3df6dbef, v45, -v42
	v_sub_f32_e32 v46, v14, v43
	v_mul_f32_e32 v43, 0x3df6dbef, v15
	v_add_f32_e32 v63, v63, v53
	s_delay_alu instid0(VALU_DEP_4) | instskip(NEXT) | instid1(VALU_DEP_4)
	v_dual_add_f32 v7, v7, v12 :: v_dual_mul_f32 v12, 0x3f6f5d39, v61
	v_mul_f32_e32 v65, 0x3f6f5d39, v46
	s_delay_alu instid0(VALU_DEP_4) | instskip(NEXT) | instid1(VALU_DEP_3)
	v_fmamk_f32 v14, v46, 0xbf7e222b, v43
	v_fma_f32 v67, 0xbeb58ec6, v45, -v12
	s_delay_alu instid0(VALU_DEP_2) | instskip(SKIP_2) | instid1(VALU_DEP_4)
	v_dual_mul_f32 v47, 0xbf788fa5, v15 :: v_dual_add_f32 v14, v14, v52
	v_fmac_f32_e32 v12, 0xbeb58ec6, v45
	v_mul_f32_e32 v52, 0x3eedf032, v61
	v_add_f32_e32 v54, v67, v54
	s_delay_alu instid0(VALU_DEP_4) | instskip(SKIP_2) | instid1(VALU_DEP_3)
	v_fmamk_f32 v64, v46, 0xbe750f2a, v47
	v_fma_f32 v53, 0xbeb58ec6, v15, -v65
	v_add_f32_e32 v6, v12, v6
	v_dual_add_f32 v64, v64, v51 :: v_dual_fmamk_f32 v51, v15, 0xbeb58ec6, v65
	s_delay_alu instid0(VALU_DEP_3) | instskip(NEXT) | instid1(VALU_DEP_2)
	v_add_f32_e32 v13, v53, v13
	v_add_f32_e32 v65, v51, v66
	v_mul_f32_e32 v51, 0x3eedf032, v46
	v_fma_f32 v12, 0x3f62ad3f, v45, -v52
	s_delay_alu instid0(VALU_DEP_1) | instskip(NEXT) | instid1(VALU_DEP_3)
	v_dual_mul_f32 v53, 0xbf52af12, v61 :: v_dual_add_f32 v12, v12, v48
	v_fma_f32 v48, 0x3f62ad3f, v15, -v51
	v_fmamk_f32 v66, v15, 0x3f62ad3f, v51
	s_delay_alu instid0(VALU_DEP_3) | instskip(NEXT) | instid1(VALU_DEP_3)
	v_fma_f32 v51, 0x3f116cb1, v45, -v53
	v_add_f32_e32 v29, v48, v29
	s_delay_alu instid0(VALU_DEP_3) | instskip(NEXT) | instid1(VALU_DEP_3)
	v_add_f32_e32 v21, v66, v21
	v_add_f32_e32 v66, v51, v49
	v_dual_mul_f32 v49, 0xbf29c268, v61 :: v_dual_mul_f32 v48, 0xbf29c268, v46
	s_delay_alu instid0(VALU_DEP_1) | instskip(SKIP_2) | instid1(VALU_DEP_4)
	v_fma_f32 v61, 0xbf3f9e67, v45, -v49
	v_fmac_f32_e32 v52, 0x3f62ad3f, v45
	v_fmac_f32_e32 v49, 0xbf3f9e67, v45
	v_fmamk_f32 v67, v15, 0xbf3f9e67, v48
	s_delay_alu instid0(VALU_DEP_3) | instskip(NEXT) | instid1(VALU_DEP_3)
	v_dual_add_f32 v61, v61, v50 :: v_dual_add_f32 v28, v52, v28
	v_add_f32_e32 v2, v49, v2
	v_mul_f32_e32 v52, 0xbf52af12, v46
	s_delay_alu instid0(VALU_DEP_4) | instskip(SKIP_2) | instid1(VALU_DEP_4)
	v_add_f32_e32 v62, v67, v62
	v_sub_f32_e32 v67, v17, v58
	v_add_f32_e32 v17, v58, v17
	v_fmamk_f32 v51, v15, 0x3f116cb1, v52
	s_delay_alu instid0(VALU_DEP_1) | instskip(SKIP_3) | instid1(VALU_DEP_2)
	v_dual_fmac_f32 v53, 0x3f116cb1, v45 :: v_dual_add_f32 v20, v51, v20
	v_add_f32_e32 v51, v57, v16
	v_fma_f32 v52, 0x3f116cb1, v15, -v52
	v_fma_f32 v15, 0xbf3f9e67, v15, -v48
	v_dual_add_f32 v59, v53, v59 :: v_dual_add_f32 v60, v52, v60
	s_delay_alu instid0(VALU_DEP_2) | instskip(SKIP_1) | instid1(VALU_DEP_1)
	v_dual_add_f32 v3, v15, v3 :: v_dual_sub_f32 v52, v16, v57
	v_mul_f32_e32 v16, 0x3eedf032, v67
	v_fma_f32 v68, 0x3f62ad3f, v51, -v16
	v_mul_f32_e32 v49, 0xbeb58ec6, v17
	s_delay_alu instid0(VALU_DEP_1) | instskip(NEXT) | instid1(VALU_DEP_1)
	v_dual_mul_f32 v48, 0xbf6f5d39, v67 :: v_dual_fmamk_f32 v57, v52, 0xbf6f5d39, v49
	v_fma_f32 v15, 0xbeb58ec6, v51, -v48
	s_delay_alu instid0(VALU_DEP_2) | instskip(SKIP_1) | instid1(VALU_DEP_1)
	v_dual_add_f32 v14, v57, v14 :: v_dual_mul_f32 v57, 0x3eedf032, v52
	v_fmac_f32_e32 v16, 0x3f62ad3f, v51
	v_dual_mul_f32 v53, 0xbf3f9e67, v17 :: v_dual_add_f32 v6, v16, v6
	s_delay_alu instid0(VALU_DEP_1) | instskip(SKIP_1) | instid1(VALU_DEP_1)
	v_dual_add_f32 v7, v15, v7 :: v_dual_fmamk_f32 v58, v52, 0x3f29c268, v53
	v_mul_f32_e32 v50, 0x3f29c268, v67
	v_fma_f32 v15, 0xbf3f9e67, v51, -v50
	s_delay_alu instid0(VALU_DEP_1) | instskip(NEXT) | instid1(VALU_DEP_4)
	v_add_f32_e32 v15, v15, v63
	v_dual_add_f32 v63, v58, v64 :: v_dual_fmamk_f32 v58, v17, 0x3f62ad3f, v57
	v_add_f32_e32 v64, v68, v54
	v_mul_f32_e32 v54, 0xbf7e222b, v67
	v_mul_f32_e32 v68, 0xbf7e222b, v52
	v_fma_f32 v57, 0x3f62ad3f, v17, -v57
	v_add_f32_e32 v65, v58, v65
	s_delay_alu instid0(VALU_DEP_4) | instskip(NEXT) | instid1(VALU_DEP_4)
	v_fma_f32 v69, 0x3df6dbef, v51, -v54
	v_fma_f32 v58, 0x3df6dbef, v17, -v68
	s_delay_alu instid0(VALU_DEP_4) | instskip(SKIP_2) | instid1(VALU_DEP_4)
	v_add_f32_e32 v13, v57, v13
	v_mul_f32_e32 v57, 0x3e750f2a, v67
	v_fmac_f32_e32 v54, 0x3df6dbef, v51
	v_dual_add_f32 v12, v69, v12 :: v_dual_add_f32 v29, v58, v29
	v_fmamk_f32 v16, v17, 0x3df6dbef, v68
	s_delay_alu instid0(VALU_DEP_4) | instskip(NEXT) | instid1(VALU_DEP_4)
	v_fma_f32 v68, 0xbf788fa5, v51, -v57
	v_dual_add_f32 v28, v54, v28 :: v_dual_fmac_f32 v57, 0xbf788fa5, v51
	v_mul_f32_e32 v58, 0x3f52af12, v67
	s_delay_alu instid0(VALU_DEP_4) | instskip(NEXT) | instid1(VALU_DEP_4)
	v_dual_add_f32 v16, v16, v21 :: v_dual_mul_f32 v21, 0x3e750f2a, v52
	v_add_f32_e32 v66, v68, v66
	s_delay_alu instid0(VALU_DEP_4) | instskip(NEXT) | instid1(VALU_DEP_4)
	v_dual_add_f32 v68, v57, v59 :: v_dual_add_f32 v57, v55, v18
	v_fma_f32 v67, 0x3f116cb1, v51, -v58
	s_delay_alu instid0(VALU_DEP_4) | instskip(SKIP_1) | instid1(VALU_DEP_1)
	v_fmamk_f32 v54, v17, 0xbf788fa5, v21
	v_fma_f32 v21, 0xbf788fa5, v17, -v21
	v_dual_add_f32 v21, v21, v60 :: v_dual_add_f32 v60, v67, v61
	v_sub_f32_e32 v61, v19, v56
	s_delay_alu instid0(VALU_DEP_4) | instskip(SKIP_1) | instid1(VALU_DEP_1)
	v_dual_add_f32 v19, v56, v19 :: v_dual_add_f32 v20, v54, v20
	v_mul_f32_e32 v54, 0x3f52af12, v52
	v_fmamk_f32 v59, v17, 0x3f116cb1, v54
	v_fma_f32 v17, 0x3f116cb1, v17, -v54
	s_delay_alu instid0(VALU_DEP_2) | instskip(NEXT) | instid1(VALU_DEP_2)
	v_dual_add_f32 v62, v59, v62 :: v_dual_mul_f32 v59, 0x3df6dbef, v19
	v_dual_mul_f32 v56, 0x3f7e222b, v61 :: v_dual_add_f32 v3, v17, v3
	s_delay_alu instid0(VALU_DEP_1) | instskip(NEXT) | instid1(VALU_DEP_1)
	v_fma_f32 v67, 0x3df6dbef, v57, -v56
	v_dual_mul_f32 v54, 0xbf29c268, v61 :: v_dual_add_f32 v15, v67, v15
	s_delay_alu instid0(VALU_DEP_1) | instskip(NEXT) | instid1(VALU_DEP_1)
	v_fma_f32 v17, 0xbf3f9e67, v57, -v54
	v_add_f32_e32 v7, v17, v7
	v_mul_f32_e32 v17, 0xbf52af12, v61
	s_delay_alu instid0(VALU_DEP_1) | instskip(SKIP_1) | instid1(VALU_DEP_1)
	v_fma_f32 v71, 0x3f116cb1, v57, -v17
	v_dual_fmac_f32 v58, 0x3f116cb1, v51 :: v_dual_fmac_f32 v17, 0x3f116cb1, v57
	v_dual_add_f32 v67, v71, v64 :: v_dual_add_f32 v2, v58, v2
	v_sub_f32_e32 v58, v18, v55
	v_mul_f32_e32 v55, 0xbf3f9e67, v19
	s_delay_alu instid0(VALU_DEP_4) | instskip(NEXT) | instid1(VALU_DEP_3)
	v_dual_add_f32 v17, v17, v6 :: v_dual_mul_f32 v64, 0x3e750f2a, v61
	v_fmamk_f32 v69, v58, 0x3f7e222b, v59
	s_delay_alu instid0(VALU_DEP_3) | instskip(SKIP_1) | instid1(VALU_DEP_4)
	v_fmamk_f32 v18, v58, 0xbf29c268, v55
	v_mul_f32_e32 v70, 0xbf52af12, v58
	v_fma_f32 v6, 0xbf788fa5, v57, -v64
	s_delay_alu instid0(VALU_DEP_3) | instskip(SKIP_1) | instid1(VALU_DEP_4)
	v_add_f32_e32 v14, v18, v14
	v_add_f32_e32 v18, v69, v63
	v_fma_f32 v69, 0x3f116cb1, v19, -v70
	s_delay_alu instid0(VALU_DEP_1) | instskip(SKIP_1) | instid1(VALU_DEP_1)
	v_dual_add_f32 v12, v6, v12 :: v_dual_add_f32 v13, v69, v13
	v_fmamk_f32 v63, v19, 0x3f116cb1, v70
	v_dual_add_f32 v70, v63, v65 :: v_dual_mul_f32 v63, 0x3e750f2a, v58
	v_mul_f32_e32 v65, 0x3eedf032, v61
	s_delay_alu instid0(VALU_DEP_2) | instskip(SKIP_1) | instid1(VALU_DEP_3)
	v_fmamk_f32 v69, v19, 0xbf788fa5, v63
	v_fma_f32 v6, 0xbf788fa5, v19, -v63
	v_fma_f32 v63, 0x3f62ad3f, v57, -v65
	v_fmac_f32_e32 v65, 0x3f62ad3f, v57
	s_delay_alu instid0(VALU_DEP_2) | instskip(NEXT) | instid1(VALU_DEP_2)
	v_dual_add_f32 v71, v6, v29 :: v_dual_add_f32 v66, v63, v66
	v_dual_add_f32 v68, v65, v68 :: v_dual_sub_f32 v65, v8, v10
	v_fmac_f32_e32 v64, 0xbf788fa5, v57
	v_dual_add_f32 v16, v69, v16 :: v_dual_mul_f32 v29, 0xbf6f5d39, v58
	s_delay_alu instid0(VALU_DEP_3) | instskip(NEXT) | instid1(VALU_DEP_3)
	v_mul_f32_e32 v9, 0xbf29c268, v65
	v_dual_add_f32 v69, v64, v28 :: v_dual_mul_f32 v28, 0x3eedf032, v58
	s_delay_alu instid0(VALU_DEP_3) | instskip(SKIP_1) | instid1(VALU_DEP_4)
	v_fmamk_f32 v64, v19, 0xbeb58ec6, v29
	v_mul_f32_e32 v6, 0xbf6f5d39, v61
	v_fmamk_f32 v11, v75, 0xbf3f9e67, v9
	s_delay_alu instid0(VALU_DEP_4) | instskip(SKIP_2) | instid1(VALU_DEP_3)
	v_fmamk_f32 v61, v19, 0x3f62ad3f, v28
	v_fma_f32 v28, 0x3f62ad3f, v19, -v28
	v_fma_f32 v19, 0xbeb58ec6, v19, -v29
	v_dual_add_f32 v20, v61, v20 :: v_dual_mul_f32 v61, 0xbf788fa5, v75
	s_delay_alu instid0(VALU_DEP_3)
	v_add_f32_e32 v21, v28, v21
	v_add_f32_e32 v73, v64, v62
	v_fma_f32 v63, 0xbeb58ec6, v57, -v6
	v_dual_add_f32 v64, v10, v8 :: v_dual_add_f32 v77, v19, v3
	v_fmamk_f32 v3, v65, 0xbe750f2a, v61
	v_fmac_f32_e32 v6, 0xbeb58ec6, v57
	v_mul_f32_e32 v62, 0x3eedf032, v74
	v_dual_add_f32 v72, v63, v60 :: v_dual_mul_f32 v63, 0x3f62ad3f, v75
	v_mul_f32_e32 v10, 0xbf29c268, v74
	v_add_f32_e32 v3, v3, v14
	v_add_f32_e32 v76, v6, v2
	v_fma_f32 v6, 0x3f62ad3f, v64, -v62
	v_dual_mul_f32 v14, 0x3f52af12, v74 :: v_dual_mul_f32 v19, 0x3f52af12, v65
	v_fma_f32 v8, 0xbf3f9e67, v64, -v10
	v_fmac_f32_e32 v10, 0xbf3f9e67, v64
	s_delay_alu instid0(VALU_DEP_4) | instskip(SKIP_4) | instid1(VALU_DEP_4)
	v_add_f32_e32 v6, v6, v15
	v_fma_f32 v15, 0xbf3f9e67, v75, -v9
	v_mul_f32_e32 v60, 0xbe750f2a, v74
	v_dual_add_f32 v8, v8, v67 :: v_dual_add_f32 v9, v11, v70
	v_dual_add_f32 v28, v10, v17 :: v_dual_fmamk_f32 v11, v75, 0x3f116cb1, v19
	v_add_f32_e32 v29, v15, v13
	s_delay_alu instid0(VALU_DEP_4) | instskip(SKIP_1) | instid1(VALU_DEP_2)
	v_fma_f32 v2, 0xbf788fa5, v64, -v60
	v_mul_f32_e32 v15, 0xbf6f5d39, v74
	v_dual_add_f32 v11, v11, v16 :: v_dual_add_f32 v2, v2, v7
	v_fmamk_f32 v7, v65, 0x3eedf032, v63
	s_delay_alu instid0(VALU_DEP_3) | instskip(SKIP_1) | instid1(VALU_DEP_3)
	v_fma_f32 v13, 0xbeb58ec6, v64, -v15
	v_fmac_f32_e32 v15, 0xbeb58ec6, v64
	v_add_f32_e32 v7, v7, v18
	v_fma_f32 v18, 0x3f116cb1, v64, -v14
	v_fmac_f32_e32 v14, 0x3f116cb1, v64
	s_delay_alu instid0(VALU_DEP_2) | instskip(SKIP_2) | instid1(VALU_DEP_4)
	v_add_f32_e32 v10, v18, v12
	v_fma_f32 v12, 0x3f116cb1, v75, -v19
	v_mul_f32_e32 v18, 0xbf6f5d39, v65
	v_add_f32_e32 v16, v14, v69
	v_mul_f32_e32 v19, 0x3f7e222b, v65
	s_delay_alu instid0(VALU_DEP_3) | instskip(SKIP_1) | instid1(VALU_DEP_3)
	v_dual_add_f32 v17, v12, v71 :: v_dual_fmamk_f32 v14, v75, 0xbeb58ec6, v18
	v_add_f32_e32 v12, v13, v66
	v_fma_f32 v67, 0x3df6dbef, v75, -v19
	s_delay_alu instid0(VALU_DEP_3) | instskip(SKIP_3) | instid1(VALU_DEP_2)
	v_dual_mul_f32 v66, 0x3f7e222b, v74 :: v_dual_add_f32 v13, v14, v20
	v_add_f32_e32 v14, v15, v68
	v_fma_f32 v15, 0xbeb58ec6, v75, -v18
	v_fmamk_f32 v20, v75, 0x3df6dbef, v19
	v_add_f32_e32 v15, v15, v21
	v_add_f32_e32 v21, v67, v77
	v_fma_f32 v18, 0x3df6dbef, v64, -v66
	s_delay_alu instid0(VALU_DEP_4) | instskip(NEXT) | instid1(VALU_DEP_2)
	v_dual_fmac_f32 v66, 0x3df6dbef, v64 :: v_dual_add_f32 v19, v20, v73
	v_add_f32_e32 v18, v18, v72
	s_delay_alu instid0(VALU_DEP_2)
	v_add_f32_e32 v20, v66, v76
	v_cmpx_gt_u32_e32 0x6e, v24
	s_cbranch_execz .LBB0_15
; %bb.14:
	v_mul_f32_e32 v66, 0xbf52af12, v35
	v_mul_f32_e32 v68, 0x3f116cb1, v39
	;; [unrolled: 1-line block ×3, first 2 shown]
	s_delay_alu instid0(VALU_DEP_3) | instskip(NEXT) | instid1(VALU_DEP_1)
	v_dual_sub_f32 v33, v33, v66 :: v_dual_mul_f32 v66, 0xbf6f5d39, v40
	v_dual_mul_f32 v40, 0xbf52af12, v40 :: v_dual_add_f32 v33, v5, v33
	s_delay_alu instid0(VALU_DEP_2)
	v_sub_f32_e32 v41, v41, v66
	v_mul_f32_e32 v34, 0x3f116cb1, v34
	v_mul_f32_e32 v66, 0xbe750f2a, v46
	;; [unrolled: 1-line block ×4, first 2 shown]
	v_add_f32_e32 v33, v41, v33
	v_dual_mul_f32 v35, 0xbeedf032, v35 :: v_dual_add_f32 v32, v34, v32
	v_mul_f32_e32 v39, 0xbeb58ec6, v39
	v_sub_f32_e32 v41, v47, v66
	v_mul_f32_e32 v47, 0x3f29c268, v52
	s_delay_alu instid0(VALU_DEP_4) | instskip(NEXT) | instid1(VALU_DEP_4)
	v_dual_sub_f32 v31, v31, v35 :: v_dual_add_f32 v32, v4, v32
	v_add_f32_e32 v35, v39, v38
	s_delay_alu instid0(VALU_DEP_4) | instskip(NEXT) | instid1(VALU_DEP_4)
	v_add_f32_e32 v33, v41, v33
	v_sub_f32_e32 v41, v53, v47
	v_mul_f32_e32 v47, 0x3f7e222b, v58
	v_mul_f32_e32 v46, 0xbf7e222b, v46
	v_add_f32_e32 v32, v35, v32
	s_delay_alu instid0(VALU_DEP_4) | instskip(NEXT) | instid1(VALU_DEP_4)
	v_dual_mul_f32 v52, 0xbf6f5d39, v52 :: v_dual_add_f32 v33, v41, v33
	v_sub_f32_e32 v41, v59, v47
	v_mul_f32_e32 v59, 0x3eedf032, v65
	v_mul_f32_e32 v69, 0x3df6dbef, v45
	;; [unrolled: 1-line block ×5, first 2 shown]
	v_dual_mul_f32 v64, 0x3f62ad3f, v64 :: v_dual_add_f32 v25, v67, v25
	s_delay_alu instid0(VALU_DEP_4) | instskip(SKIP_2) | instid1(VALU_DEP_4)
	v_dual_add_f32 v35, v45, v44 :: v_dual_mul_f32 v66, 0xbf3f9e67, v57
	v_mul_f32_e32 v57, 0x3df6dbef, v57
	v_mad_u32_u24 v38, 0x60, v24, v30
	v_add_f32_e32 v4, v4, v25
	s_delay_alu instid0(VALU_DEP_4) | instskip(SKIP_1) | instid1(VALU_DEP_1)
	v_add_f32_e32 v32, v35, v32
	v_add_f32_e32 v25, v68, v36
	v_dual_add_f32 v35, v51, v50 :: v_dual_add_f32 v4, v25, v4
	s_delay_alu instid0(VALU_DEP_1) | instskip(SKIP_4) | instid1(VALU_DEP_4)
	v_add_f32_e32 v32, v35, v32
	v_dual_sub_f32 v34, v63, v59 :: v_dual_add_f32 v25, v69, v42
	v_mul_f32_e32 v47, 0xbe750f2a, v65
	v_add_f32_e32 v35, v57, v56
	v_add_f32_e32 v33, v41, v33
	;; [unrolled: 1-line block ×4, first 2 shown]
	s_delay_alu instid0(VALU_DEP_4) | instskip(SKIP_1) | instid1(VALU_DEP_3)
	v_dual_add_f32 v32, v35, v32 :: v_dual_add_f32 v35, v64, v62
	v_sub_f32_e32 v36, v61, v47
	v_add_f32_e32 v4, v25, v4
	v_add_f32_e32 v5, v5, v31
	v_sub_f32_e32 v31, v37, v40
	v_add_f32_e32 v25, v66, v54
	v_add_f32_e32 v37, v58, v60
	s_delay_alu instid0(VALU_DEP_2) | instskip(SKIP_3) | instid1(VALU_DEP_1)
	v_add_f32_e32 v25, v25, v4
	v_add_f32_e32 v4, v35, v32
	;; [unrolled: 1-line block ×3, first 2 shown]
	v_sub_f32_e32 v31, v43, v46
	v_add_f32_e32 v5, v31, v5
	v_sub_f32_e32 v31, v49, v52
	s_delay_alu instid0(VALU_DEP_1) | instskip(SKIP_1) | instid1(VALU_DEP_1)
	v_add_f32_e32 v5, v31, v5
	v_sub_f32_e32 v31, v55, v53
	v_add_f32_e32 v31, v31, v5
	s_delay_alu instid0(VALU_DEP_1)
	v_dual_add_f32 v5, v34, v33 :: v_dual_add_f32 v32, v36, v31
	v_add_f32_e32 v31, v37, v25
	ds_store_2addr_b64 v38, v[0:1], v[2:3] offset1:1
	ds_store_2addr_b64 v38, v[6:7], v[8:9] offset0:2 offset1:3
	ds_store_2addr_b64 v38, v[10:11], v[12:13] offset0:4 offset1:5
	;; [unrolled: 1-line block ×5, first 2 shown]
	ds_store_b64 v38, v[31:32] offset:96
.LBB0_15:
	s_wait_alu 0xfffe
	s_or_b32 exec_lo, exec_lo, s1
	v_cmp_gt_u32_e64 s0, 0x82, v24
	s_lshl_b64 s[2:3], s[10:11], 3
	global_wb scope:SCOPE_SE
	s_wait_dscnt 0x0
	s_barrier_signal -1
	s_barrier_wait -1
	global_inv scope:SCOPE_SE
	s_and_saveexec_b32 s1, s0
	s_cbranch_execz .LBB0_17
; %bb.16:
	v_add_nc_u32_e32 v4, 0x800, v30
	v_add_nc_u32_e32 v5, 0x1000, v30
	;; [unrolled: 1-line block ×4, first 2 shown]
	ds_load_2addr_b64 v[0:3], v30 offset1:130
	ds_load_2addr_b64 v[6:9], v4 offset0:4 offset1:134
	ds_load_2addr_b64 v[10:13], v5 offset0:8 offset1:138
	;; [unrolled: 1-line block ×4, first 2 shown]
	ds_load_b64 v[28:29], v30 offset:10400
.LBB0_17:
	s_wait_alu 0xfffe
	s_or_b32 exec_lo, exec_lo, s1
	s_add_nc_u64 s[2:3], s[14:15], s[2:3]
	global_wb scope:SCOPE_SE
	s_wait_dscnt 0x0
	s_barrier_signal -1
	s_barrier_wait -1
	global_inv scope:SCOPE_SE
	s_and_saveexec_b32 s1, s0
	s_cbranch_execz .LBB0_19
; %bb.18:
	v_and_b32_e32 v4, 0xff, v24
	s_delay_alu instid0(VALU_DEP_1) | instskip(NEXT) | instid1(VALU_DEP_1)
	v_mul_lo_u16 v4, 0x4f, v4
	v_lshrrev_b16 v4, 10, v4
	s_delay_alu instid0(VALU_DEP_1) | instskip(NEXT) | instid1(VALU_DEP_1)
	v_mul_lo_u16 v5, v4, 13
	v_sub_nc_u16 v5, v24, v5
	s_delay_alu instid0(VALU_DEP_1) | instskip(NEXT) | instid1(VALU_DEP_1)
	v_and_b32_e32 v5, 0xff, v5
	v_mul_u32_u24_e32 v25, 10, v5
	s_delay_alu instid0(VALU_DEP_1)
	v_lshlrev_b32_e32 v25, 3, v25
	s_clause 0x4
	global_load_b128 v[36:39], v25, s[8:9] offset:64
	global_load_b128 v[40:43], v25, s[8:9]
	global_load_b128 v[44:47], v25, s[8:9] offset:48
	global_load_b128 v[48:51], v25, s[8:9] offset:16
	;; [unrolled: 1-line block ×3, first 2 shown]
	v_and_b32_e32 v4, 0xffff, v4
	s_wait_loadcnt 0x3
	v_mul_f32_e32 v56, v2, v41
	s_wait_loadcnt 0x1
	v_dual_mul_f32 v57, v6, v43 :: v_dual_mul_f32 v58, v8, v49
	s_wait_loadcnt 0x0
	v_dual_mul_f32 v31, v14, v47 :: v_dual_mul_f32 v34, v12, v53
	v_mul_f32_e32 v41, v3, v41
	v_mul_u32_u24_e32 v4, 0x478, v4
	v_mul_f32_e32 v25, v16, v37
	v_dual_mul_f32 v43, v7, v43 :: v_dual_mul_f32 v32, v20, v45
	v_dual_fmac_f32 v56, v3, v40 :: v_dual_lshlrev_b32 v5, 3, v5
	v_dual_fmac_f32 v31, v15, v46 :: v_dual_fmac_f32 v58, v9, v48
	v_mul_f32_e32 v37, v17, v37
	s_delay_alu instid0(VALU_DEP_4) | instskip(NEXT) | instid1(VALU_DEP_4)
	v_fmac_f32_e32 v32, v21, v44
	v_add3_u32 v4, 0, v4, v5
	v_mul_f32_e32 v5, v28, v39
	v_mul_f32_e32 v39, v29, v39
	v_fma_f32 v3, v16, v36, -v37
	v_fmac_f32_e32 v34, v13, v52
	v_fmac_f32_e32 v25, v17, v36
	v_fma_f32 v17, v6, v42, -v43
	v_fmac_f32_e32 v57, v7, v42
	v_mul_f32_e32 v53, v13, v53
	v_add_f32_e32 v42, v1, v56
	s_delay_alu instid0(VALU_DEP_3)
	v_add_f32_e32 v13, v57, v25
	v_fmac_f32_e32 v5, v29, v38
	v_fma_f32 v29, v2, v40, -v41
	v_fma_f32 v2, v28, v38, -v39
	v_mul_f32_e32 v47, v15, v47
	v_add_f32_e32 v38, v17, v3
	v_add_f32_e32 v16, v58, v31
	s_delay_alu instid0(VALU_DEP_4) | instskip(NEXT) | instid1(VALU_DEP_4)
	v_add_f32_e32 v36, v29, v2
	v_fma_f32 v6, v14, v46, -v47
	v_mul_f32_e32 v49, v9, v49
	v_fma_f32 v9, v12, v52, -v53
	v_sub_f32_e32 v14, v17, v3
	v_dual_sub_f32 v12, v29, v2 :: v_dual_add_f32 v29, v0, v29
	s_delay_alu instid0(VALU_DEP_4) | instskip(SKIP_3) | instid1(VALU_DEP_4)
	v_fma_f32 v15, v8, v48, -v49
	v_mul_f32_e32 v33, v18, v55
	v_dual_mul_f32 v55, v19, v55 :: v_dual_mul_f32 v48, 0x3f575c64, v13
	v_dual_sub_f32 v37, v56, v5 :: v_dual_mul_f32 v64, 0x3e903f40, v14
	v_add_f32_e32 v40, v15, v6
	s_delay_alu instid0(VALU_DEP_3) | instskip(SKIP_3) | instid1(VALU_DEP_3)
	v_fma_f32 v8, v18, v54, -v55
	v_mul_f32_e32 v35, v10, v51
	v_mul_f32_e32 v51, v11, v51
	v_dual_fmac_f32 v33, v19, v54 :: v_dual_mul_f32 v52, 0xbe903f40, v37
	v_dual_sub_f32 v28, v9, v8 :: v_dual_fmac_f32 v35, v11, v50
	v_add_f32_e32 v46, v9, v8
	s_delay_alu instid0(VALU_DEP_4) | instskip(SKIP_4) | instid1(VALU_DEP_4)
	v_fma_f32 v10, v10, v50, -v51
	v_mul_f32_e32 v45, v21, v45
	v_dual_add_f32 v11, v56, v5 :: v_dual_mul_f32 v54, 0xbf4178ce, v12
	v_add_f32_e32 v19, v35, v32
	v_sub_f32_e32 v18, v15, v6
	v_fma_f32 v7, v20, v44, -v45
	v_sub_f32_e32 v43, v35, v32
	v_dual_mul_f32 v47, 0xbf75a155, v11 :: v_dual_add_f32 v42, v42, v57
	v_mul_f32_e32 v50, 0x3ed4b147, v19
	s_delay_alu instid0(VALU_DEP_4) | instskip(SKIP_2) | instid1(VALU_DEP_3)
	v_dual_sub_f32 v20, v10, v7 :: v_dual_sub_f32 v39, v57, v25
	v_mul_f32_e32 v49, 0xbf27a4f4, v16
	v_dual_add_f32 v21, v34, v33 :: v_dual_mul_f32 v60, 0x3f68dda4, v28
	v_mul_f32_e32 v66, 0xbf0a6770, v20
	s_delay_alu instid0(VALU_DEP_4)
	v_dual_mul_f32 v61, 0xbf4178ce, v37 :: v_dual_mul_f32 v76, 0xbf4178ce, v39
	v_dual_sub_f32 v41, v58, v31 :: v_dual_mul_f32 v68, 0xbf7d64f0, v37
	v_dual_sub_f32 v45, v34, v33 :: v_dual_mul_f32 v74, 0x3f0a6770, v28
	v_mul_f32_e32 v53, 0x3f0a6770, v39
	v_mul_f32_e32 v55, 0x3f7d64f0, v14
	;; [unrolled: 1-line block ×3, first 2 shown]
	v_dual_mul_f32 v59, 0xbe903f40, v20 :: v_dual_add_f32 v42, v42, v58
	v_mul_f32_e32 v62, 0x3f7d64f0, v39
	v_dual_mul_f32 v63, 0xbf7d64f0, v12 :: v_dual_mul_f32 v88, 0xbf7d64f0, v45
	v_dual_mul_f32 v65, 0x3f68dda4, v18 :: v_dual_mul_f32 v82, 0x3f68dda4, v41
	v_dual_mul_f32 v69, 0x3e903f40, v39 :: v_dual_fmamk_f32 v92, v12, 0x3e903f40, v47
	v_mul_f32_e32 v70, 0xbf68dda4, v12
	v_dual_mul_f32 v71, 0xbf4178ce, v14 :: v_dual_mul_f32 v80, 0xbf4178ce, v20
	v_mul_f32_e32 v72, 0x3e903f40, v18
	v_dual_mul_f32 v77, 0xbf0a6770, v12 :: v_dual_mul_f32 v86, 0xbf0a6770, v43
	v_mul_f32_e32 v79, 0xbf7d64f0, v18
	v_dual_add_f32 v17, v29, v17 :: v_dual_mul_f32 v84, 0x3f68dda4, v43
	v_fmamk_f32 v94, v18, 0x3f4178ce, v49
	v_fmac_f32_e32 v47, 0xbe903f40, v12
	v_fma_f32 v12, 0xbf75a155, v36, -v52
	v_fma_f32 v58, 0xbf27a4f4, v38, -v76
	v_fmac_f32_e32 v49, 0xbf4178ce, v18
	v_fmamk_f32 v18, v11, 0xbf27a4f4, v54
	v_mul_f32_e32 v51, 0xbe11bafb, v21
	v_dual_mul_f32 v75, 0xbf68dda4, v37 :: v_dual_mul_f32 v78, 0xbf68dda4, v14
	s_delay_alu instid0(VALU_DEP_3)
	v_dual_mul_f32 v81, 0xbe903f40, v28 :: v_dual_add_f32 v18, v1, v18
	v_dual_mul_f32 v37, 0xbf0a6770, v37 :: v_dual_add_f32 v12, v0, v12
	v_mul_f32_e32 v89, 0x3f68dda4, v45
	v_dual_fmamk_f32 v97, v36, 0xbf75a155, v52 :: v_dual_fmamk_f32 v52, v19, 0xbf75a155, v59
	v_mul_f32_e32 v73, 0x3f7d64f0, v20
	v_fma_f32 v100, 0xbe11bafb, v38, -v62
	v_fmamk_f32 v93, v14, 0xbf0a6770, v48
	v_fmac_f32_e32 v48, 0x3f0a6770, v14
	v_fma_f32 v14, 0x3f575c64, v38, -v53
	v_fmamk_f32 v101, v11, 0xbe11bafb, v63
	v_fma_f32 v106, 0xbe11bafb, v36, -v68
	v_fmac_f32_e32 v68, 0xbe11bafb, v36
	v_fma_f32 v54, 0xbf27a4f4, v11, -v54
	v_fma_f32 v63, 0xbe11bafb, v11, -v63
	v_fmamk_f32 v110, v13, 0xbf27a4f4, v71
	v_fmamk_f32 v95, v20, 0xbf68dda4, v50
	v_fmac_f32_e32 v50, 0x3f68dda4, v20
	v_fmamk_f32 v20, v13, 0xbe11bafb, v55
	v_add_f32_e32 v15, v17, v15
	v_dual_add_f32 v44, v10, v7 :: v_dual_mul_f32 v67, 0xbf4178ce, v28
	v_mul_f32_e32 v90, 0xbf4178ce, v45
	v_dual_mul_f32 v57, 0xbf0a6770, v41 :: v_dual_add_f32 v54, v1, v54
	v_dual_mul_f32 v83, 0x3e903f40, v41 :: v_dual_add_f32 v68, v0, v68
	;; [unrolled: 1-line block ×3, first 2 shown]
	v_mul_f32_e32 v91, 0x3f0a6770, v45
	v_fmamk_f32 v96, v28, 0x3f7d64f0, v51
	v_fma_f32 v99, 0xbf27a4f4, v36, -v61
	v_fmamk_f32 v102, v13, 0xbf75a155, v64
	v_fmamk_f32 v104, v19, 0x3f575c64, v66
	v_fma_f32 v108, 0x3ed4b147, v36, -v75
	v_fmamk_f32 v109, v11, 0x3f575c64, v77
	v_mul_f32_e32 v39, 0xbf68dda4, v39
	v_fmac_f32_e32 v61, 0xbf27a4f4, v36
	v_fmac_f32_e32 v75, 0x3ed4b147, v36
	v_fma_f32 v55, 0xbe11bafb, v13, -v55
	v_fmac_f32_e32 v51, 0xbf7d64f0, v28
	v_fmamk_f32 v28, v16, 0x3f575c64, v56
	v_fma_f32 v64, 0xbf75a155, v13, -v64
	v_add_f32_e32 v63, v1, v63
	v_fmamk_f32 v107, v11, 0x3ed4b147, v70
	v_mul_f32_e32 v29, 0xbf4178ce, v41
	v_fma_f32 v70, 0x3ed4b147, v11, -v70
	v_mul_f32_e32 v41, 0xbf7d64f0, v41
	v_fma_f32 v11, 0x3f575c64, v11, -v77
	v_fma_f32 v77, 0x3f575c64, v36, -v37
	s_delay_alu instid0(VALU_DEP_4)
	v_dual_fmac_f32 v37, 0x3f575c64, v36 :: v_dual_add_f32 v70, v1, v70
	v_mul_f32_e32 v85, 0xbe903f40, v43
	v_dual_mul_f32 v43, 0xbf4178ce, v43 :: v_dual_add_f32 v12, v14, v12
	v_fma_f32 v36, 0xbf75a155, v38, -v69
	v_fmac_f32_e32 v69, 0xbf75a155, v38
	v_dual_mul_f32 v45, 0xbe903f40, v45 :: v_dual_add_f32 v14, v20, v18
	v_dual_fmamk_f32 v98, v38, 0x3f575c64, v53 :: v_dual_fmamk_f32 v113, v21, 0x3f575c64, v74
	v_fmamk_f32 v103, v16, 0x3ed4b147, v65
	v_dual_fmamk_f32 v105, v21, 0xbf27a4f4, v67 :: v_dual_fmac_f32 v76, 0xbf27a4f4, v38
	v_fmamk_f32 v111, v16, 0xbf75a155, v72
	v_fmamk_f32 v112, v19, 0xbe11bafb, v73
	;; [unrolled: 1-line block ×3, first 2 shown]
	v_fma_f32 v71, 0xbf27a4f4, v13, -v71
	v_fma_f32 v13, 0x3ed4b147, v13, -v78
	v_fmamk_f32 v78, v16, 0xbe11bafb, v79
	v_fma_f32 v56, 0x3f575c64, v16, -v56
	v_fma_f32 v65, 0x3ed4b147, v16, -v65
	v_fma_f32 v72, 0xbf75a155, v16, -v72
	v_fma_f32 v16, 0xbe11bafb, v16, -v79
	v_fmamk_f32 v79, v19, 0xbf27a4f4, v80
	v_fma_f32 v59, 0xbf75a155, v19, -v59
	v_fma_f32 v66, 0x3f575c64, v19, -v66
	;; [unrolled: 5-line block ×3, first 2 shown]
	v_fmac_f32_e32 v62, 0xbe11bafb, v38
	v_fma_f32 v114, 0x3f575c64, v40, -v57
	v_dual_fmac_f32 v57, 0x3f575c64, v40 :: v_dual_add_f32 v14, v28, v14
	v_fma_f32 v115, 0x3ed4b147, v40, -v82
	v_fmac_f32_e32 v82, 0x3ed4b147, v40
	v_fma_f32 v116, 0xbf75a155, v40, -v83
	v_fmac_f32_e32 v83, 0xbf75a155, v40
	;; [unrolled: 2-line block ×7, first 2 shown]
	v_fma_f32 v122, 0x3ed4b147, v46, -v89
	v_fma_f32 v123, 0xbf27a4f4, v46, -v90
	v_fmac_f32_e32 v90, 0xbf27a4f4, v46
	v_fma_f32 v124, 0x3f575c64, v46, -v91
	v_fmac_f32_e32 v91, 0x3f575c64, v46
	v_fma_f32 v125, 0xbf75a155, v46, -v45
	v_add_f32_e32 v61, v0, v61
	v_fmamk_f32 v53, v21, 0x3ed4b147, v60
	v_fma_f32 v60, 0x3ed4b147, v21, -v60
	v_fma_f32 v21, 0xbf75a155, v21, -v81
	;; [unrolled: 1-line block ×3, first 2 shown]
	v_fmac_f32_e32 v39, 0x3ed4b147, v38
	v_fmamk_f32 v38, v40, 0xbf27a4f4, v29
	v_fma_f32 v29, 0xbf27a4f4, v40, -v29
	v_fmamk_f32 v40, v44, 0x3ed4b147, v84
	v_fma_f32 v84, 0x3ed4b147, v44, -v84
	;; [unrolled: 2-line block ×3, first 2 shown]
	v_dual_fmac_f32 v45, 0xbf75a155, v46 :: v_dual_add_f32 v12, v29, v12
	v_dual_add_f32 v9, v10, v9 :: v_dual_add_f32 v10, v55, v54
	v_dual_add_f32 v54, v69, v68 :: v_dual_fmac_f32 v89, 0x3ed4b147, v46
	v_add_f32_e32 v46, v1, v92
	v_add_f32_e32 v92, v0, v97
	;; [unrolled: 1-line block ×5, first 2 shown]
	v_dual_add_f32 v77, v0, v77 :: v_dual_add_f32 v8, v9, v8
	v_add_f32_e32 v106, v1, v107
	s_delay_alu instid0(VALU_DEP_4) | instskip(NEXT) | instid1(VALU_DEP_4)
	v_add_f32_e32 v20, v102, v99
	v_dual_add_f32 v36, v36, v101 :: v_dual_add_f32 v47, v1, v47
	v_dual_add_f32 v107, v0, v108 :: v_dual_add_f32 v108, v1, v109
	s_delay_alu instid0(VALU_DEP_3) | instskip(SKIP_3) | instid1(VALU_DEP_3)
	v_add_f32_e32 v20, v103, v20
	v_dual_add_f32 v18, v100, v97 :: v_dual_add_f32 v1, v1, v11
	v_dual_add_f32 v11, v42, v35 :: v_dual_add_f32 v14, v52, v14
	v_add_f32_e32 v35, v98, v92
	v_dual_add_f32 v18, v114, v18 :: v_dual_add_f32 v75, v0, v75
	v_add_f32_e32 v0, v0, v37
	v_dual_add_f32 v28, v115, v36 :: v_dual_add_f32 v37, v48, v47
	v_dual_add_f32 v47, v81, v77 :: v_dual_add_f32 v20, v104, v20
	v_add_f32_e32 v55, v71, v70
	v_add_f32_e32 v15, v93, v46
	v_dual_add_f32 v1, v13, v1 :: v_dual_add_f32 v0, v39, v0
	v_add_f32_e32 v9, v56, v10
	v_add_f32_e32 v18, v118, v18
	s_delay_alu instid0(VALU_DEP_4) | instskip(NEXT) | instid1(VALU_DEP_4)
	v_add_f32_e32 v13, v94, v15
	v_dual_add_f32 v15, v38, v35 :: v_dual_add_f32 v0, v41, v0
	v_add_f32_e32 v28, v119, v28
	v_add_f32_e32 v42, v110, v106
	;; [unrolled: 1-line block ×3, first 2 shown]
	s_delay_alu instid0(VALU_DEP_4) | instskip(SKIP_2) | instid1(VALU_DEP_2)
	v_add_f32_e32 v15, v40, v15
	v_dual_add_f32 v11, v11, v34 :: v_dual_add_f32 v34, v62, v61
	v_add_f32_e32 v48, v64, v63
	v_add_f32_e32 v10, v57, v34
	;; [unrolled: 1-line block ×4, first 2 shown]
	v_dual_add_f32 v58, v76, v75 :: v_dual_add_f32 v35, v49, v37
	s_delay_alu instid0(VALU_DEP_3) | instskip(SKIP_1) | instid1(VALU_DEP_4)
	v_dual_add_f32 v17, v17, v108 :: v_dual_add_f32 v34, v86, v34
	v_add_f32_e32 v1, v16, v1
	v_add_f32_e32 v36, v116, v46
	s_delay_alu instid0(VALU_DEP_4) | instskip(NEXT) | instid1(VALU_DEP_4)
	v_add_f32_e32 v16, v50, v35
	v_add_f32_e32 v17, v78, v17
	;; [unrolled: 1-line block ×4, first 2 shown]
	v_dual_add_f32 v10, v53, v14 :: v_dual_add_f32 v43, v43, v0
	s_delay_alu instid0(VALU_DEP_4)
	v_add_f32_e32 v17, v79, v17
	v_dual_add_f32 v29, v111, v42 :: v_dual_add_f32 v0, v44, v15
	v_add_f32_e32 v11, v11, v33
	v_dual_add_f32 v35, v120, v36 :: v_dual_add_f32 v42, v19, v1
	v_dual_add_f32 v36, v121, v37 :: v_dual_add_f32 v37, v8, v7
	v_add_f32_e32 v8, v51, v16
	v_add_f32_e32 v16, v80, v17
	v_dual_add_f32 v29, v112, v29 :: v_dual_add_f32 v32, v11, v32
	s_delay_alu instid0(VALU_DEP_4)
	v_add_f32_e32 v6, v37, v6
	v_add_f32_e32 v33, v65, v48
	v_add_f32_e32 v7, v88, v12
	v_add_f32_e32 v12, v105, v20
	v_add_f32_e32 v38, v72, v55
	v_add_f32_e32 v6, v6, v3
	v_add_f32_e32 v14, v113, v29
	v_add_f32_e32 v40, v59, v9
	v_add_f32_e32 v39, v83, v58
	v_dual_add_f32 v11, v123, v28 :: v_dual_add_f32 v28, v32, v31
	v_dual_add_f32 v13, v95, v13 :: v_dual_add_f32 v32, v21, v42
	;; [unrolled: 1-line block ×4, first 2 shown]
	v_add_f32_e32 v39, v87, v39
	v_add_f32_e32 v25, v28, v25
	v_dual_add_f32 v1, v96, v13 :: v_dual_add_f32 v2, v6, v2
	v_add_f32_e32 v13, v124, v35
	v_add_f32_e32 v17, v89, v41
	v_dual_add_f32 v20, v67, v33 :: v_dual_add_f32 v19, v90, v34
	v_dual_add_f32 v29, v74, v38 :: v_dual_add_f32 v28, v91, v39
	v_add_f32_e32 v15, v125, v36
	v_add_f32_e32 v3, v25, v5
	;; [unrolled: 1-line block ×3, first 2 shown]
	ds_store_2addr_b64 v4, v[13:14], v[11:12] offset0:26 offset1:39
	ds_store_2addr_b64 v4, v[9:10], v[7:8] offset0:52 offset1:65
	;; [unrolled: 1-line block ×4, first 2 shown]
	ds_store_2addr_b64 v4, v[2:3], v[15:16] offset1:13
	ds_store_b64 v4, v[31:32] offset:1040
.LBB0_19:
	s_wait_alu 0xfffe
	s_or_b32 exec_lo, exec_lo, s1
	v_mul_u32_u24_e32 v0, 9, v24
	s_load_b64 s[2:3], s[2:3], 0x0
	global_wb scope:SCOPE_SE
	s_wait_dscnt 0x0
	s_wait_kmcnt 0x0
	s_barrier_signal -1
	s_barrier_wait -1
	v_lshlrev_b32_e32 v16, 3, v0
	global_inv scope:SCOPE_SE
	s_mov_b32 s1, exec_lo
	s_clause 0x4
	global_load_b128 v[0:3], v16, s[8:9] offset:1040
	global_load_b128 v[4:7], v16, s[8:9] offset:1056
	;; [unrolled: 1-line block ×4, first 2 shown]
	global_load_b64 v[20:21], v16, s[8:9] offset:1104
	ds_load_2addr_b64 v[16:19], v30 offset1:143
	v_add_nc_u32_e32 v25, 0x800, v30
	v_add_nc_u32_e32 v29, 0x1800, v30
	s_wait_loadcnt_dscnt 0x400
	v_dual_mul_f32 v48, v1, v19 :: v_dual_add_nc_u32 v47, 0x2200, v30
	ds_load_2addr_b64 v[31:34], v25 offset0:30 offset1:173
	v_add_nc_u32_e32 v28, 0x1000, v30
	v_mul_f32_e32 v49, v1, v18
	v_fma_f32 v18, v0, v18, -v48
	s_delay_alu instid0(VALU_DEP_2)
	v_fmac_f32_e32 v49, v0, v19
	s_wait_dscnt 0x0
	v_mul_f32_e32 v1, v3, v32
	ds_load_2addr_b64 v[35:38], v28 offset0:60 offset1:203
	ds_load_2addr_b64 v[39:42], v29 offset0:90 offset1:233
	;; [unrolled: 1-line block ×3, first 2 shown]
	s_wait_loadcnt 0x3
	v_dual_mul_f32 v3, v3, v31 :: v_dual_mul_f32 v50, v5, v34
	v_fma_f32 v0, v2, v31, -v1
	v_mul_f32_e32 v5, v5, v33
	global_wb scope:SCOPE_SE
	s_wait_loadcnt_dscnt 0x0
	v_fmac_f32_e32 v3, v2, v32
	v_fma_f32 v1, v4, v33, -v50
	s_barrier_signal -1
	s_barrier_wait -1
	global_inv scope:SCOPE_SE
	v_mul_f32_e32 v53, v40, v11
	v_dual_mul_f32 v51, v7, v36 :: v_dual_mul_f32 v52, v9, v38
	v_mul_f32_e32 v55, v44, v15
	v_mul_f32_e32 v15, v43, v15
	;; [unrolled: 1-line block ×3, first 2 shown]
	s_delay_alu instid0(VALU_DEP_4) | instskip(SKIP_1) | instid1(VALU_DEP_4)
	v_fma_f32 v2, v6, v35, -v51
	v_dual_mul_f32 v7, v7, v35 :: v_dual_mul_f32 v54, v42, v13
	v_fmac_f32_e32 v15, v44, v14
	v_mul_f32_e32 v9, v9, v37
	v_fmac_f32_e32 v11, v40, v10
	v_sub_f32_e32 v32, v0, v2
	v_mul_f32_e32 v56, v46, v21
	s_delay_alu instid0(VALU_DEP_4)
	v_dual_add_f32 v44, v18, v1 :: v_dual_fmac_f32 v9, v8, v38
	v_fmac_f32_e32 v7, v6, v36
	v_mul_f32_e32 v13, v41, v13
	v_fma_f32 v6, v39, v10, -v53
	v_fma_f32 v10, v43, v14, -v55
	v_add_f32_e32 v14, v16, v0
	s_delay_alu instid0(VALU_DEP_4) | instskip(NEXT) | instid1(VALU_DEP_3)
	v_dual_add_f32 v38, v7, v11 :: v_dual_fmac_f32 v13, v42, v12
	v_sub_f32_e32 v36, v6, v10
	s_delay_alu instid0(VALU_DEP_2)
	v_dual_sub_f32 v48, v9, v13 :: v_dual_fmac_f32 v5, v4, v34
	v_add_f32_e32 v42, v3, v15
	v_fma_f32 v4, v8, v37, -v52
	v_fma_f32 v8, v41, v12, -v54
	;; [unrolled: 1-line block ×3, first 2 shown]
	v_add_f32_e32 v19, v2, v6
	v_add_f32_e32 v34, v0, v10
	v_sub_f32_e32 v50, v1, v4
	v_sub_f32_e32 v58, v5, v9
	;; [unrolled: 1-line block ×3, first 2 shown]
	v_add_f32_e32 v56, v9, v13
	v_dual_mul_f32 v21, v45, v21 :: v_dual_sub_f32 v40, v3, v7
	v_sub_f32_e32 v35, v2, v0
	v_dual_sub_f32 v33, v10, v6 :: v_dual_add_f32 v52, v1, v12
	s_delay_alu instid0(VALU_DEP_3)
	v_fmac_f32_e32 v21, v46, v20
	v_sub_f32_e32 v31, v7, v11
	v_sub_f32_e32 v39, v2, v6
	v_add_f32_e32 v2, v14, v2
	v_add_f32_e32 v14, v32, v33
	v_sub_f32_e32 v59, v21, v13
	v_dual_add_f32 v60, v5, v21 :: v_dual_sub_f32 v41, v15, v11
	s_delay_alu instid0(VALU_DEP_4)
	v_dual_add_f32 v2, v2, v6 :: v_dual_add_f32 v37, v17, v3
	v_dual_sub_f32 v46, v5, v21 :: v_dual_sub_f32 v51, v12, v8
	v_fma_f32 v19, -0.5, v19, v16
	v_fma_f32 v16, -0.5, v34, v16
	v_add_f32_e32 v55, v49, v5
	v_fma_f32 v33, -0.5, v38, v17
	v_add_f32_e32 v34, v40, v41
	v_fma_f32 v17, -0.5, v42, v17
	v_dual_add_f32 v40, v58, v59 :: v_dual_add_f32 v45, v4, v8
	v_sub_f32_e32 v20, v3, v15
	v_sub_f32_e32 v0, v0, v10
	v_dual_sub_f32 v53, v4, v1 :: v_dual_fmamk_f32 v42, v31, 0xbf737871, v16
	v_dual_sub_f32 v5, v9, v5 :: v_dual_add_f32 v2, v2, v10
	v_add_f32_e32 v32, v35, v36
	v_add_f32_e32 v36, v50, v51
	v_fma_f32 v35, -0.5, v45, v18
	v_fmac_f32_e32 v18, -0.5, v52
	v_sub_f32_e32 v57, v4, v8
	v_add_f32_e32 v4, v44, v4
	v_fmamk_f32 v44, v39, 0x3f737871, v17
	v_dual_fmac_f32 v16, 0x3f737871, v31 :: v_dual_add_f32 v9, v55, v9
	s_delay_alu instid0(VALU_DEP_3) | instskip(SKIP_4) | instid1(VALU_DEP_4)
	v_dual_sub_f32 v3, v7, v3 :: v_dual_add_f32 v4, v4, v8
	v_dual_sub_f32 v43, v11, v15 :: v_dual_fmamk_f32 v8, v48, 0xbf737871, v18
	v_dual_sub_f32 v61, v13, v21 :: v_dual_fmac_f32 v42, 0x3f167918, v20
	v_fmac_f32_e32 v18, 0x3f737871, v48
	v_dual_fmac_f32 v44, 0xbf167918, v0 :: v_dual_add_f32 v9, v9, v13
	v_dual_add_f32 v3, v3, v43 :: v_dual_fmac_f32 v16, 0xbf167918, v20
	v_fma_f32 v38, -0.5, v56, v49
	v_add_f32_e32 v7, v37, v7
	v_dual_fmac_f32 v49, -0.5, v60 :: v_dual_fmac_f32 v8, 0x3f167918, v46
	v_dual_add_f32 v5, v5, v61 :: v_dual_add_f32 v4, v4, v12
	v_fmamk_f32 v41, v20, 0x3f737871, v19
	v_dual_fmac_f32 v18, 0xbf167918, v46 :: v_dual_add_f32 v9, v9, v21
	v_fmac_f32_e32 v42, 0x3e9e377a, v32
	v_fmac_f32_e32 v19, 0xbf737871, v20
	v_dual_sub_f32 v1, v1, v12 :: v_dual_add_f32 v6, v7, v11
	v_add_f32_e32 v37, v53, v54
	v_fmamk_f32 v13, v57, 0x3f737871, v49
	v_fmac_f32_e32 v16, 0x3e9e377a, v32
	v_fmac_f32_e32 v19, 0xbf167918, v31
	v_add_f32_e32 v6, v6, v15
	v_fmac_f32_e32 v8, 0x3e9e377a, v37
	v_fmac_f32_e32 v17, 0xbf737871, v39
	;; [unrolled: 1-line block ×4, first 2 shown]
	v_fmamk_f32 v43, v0, 0xbf737871, v33
	v_fmamk_f32 v11, v1, 0xbf737871, v38
	v_fmac_f32_e32 v38, 0x3f737871, v1
	v_fmac_f32_e32 v13, 0x3e9e377a, v5
	;; [unrolled: 1-line block ×3, first 2 shown]
	v_mul_f32_e32 v20, 0xbf737871, v8
	v_fmac_f32_e32 v17, 0x3f167918, v0
	v_dual_add_f32 v0, v2, v4 :: v_dual_fmac_f32 v41, 0x3f167918, v31
	v_fmac_f32_e32 v38, 0x3f167918, v57
	v_fmac_f32_e32 v44, 0x3e9e377a, v3
	;; [unrolled: 1-line block ×3, first 2 shown]
	s_delay_alu instid0(VALU_DEP_4)
	v_dual_sub_f32 v2, v2, v4 :: v_dual_fmac_f32 v41, 0x3e9e377a, v14
	v_fmac_f32_e32 v49, 0xbf737871, v57
	v_mul_f32_e32 v14, 0x3f737871, v13
	v_fmac_f32_e32 v33, 0x3f167918, v39
	v_fmac_f32_e32 v43, 0xbf167918, v39
	v_mul_f32_e32 v4, 0x3e9e377a, v18
	v_fmac_f32_e32 v49, 0x3f167918, v1
	s_delay_alu instid0(VALU_DEP_4) | instskip(SKIP_2) | instid1(VALU_DEP_4)
	v_dual_fmac_f32 v38, 0x3e9e377a, v40 :: v_dual_fmac_f32 v33, 0x3e9e377a, v34
	v_fmamk_f32 v7, v46, 0x3f737871, v35
	v_fmac_f32_e32 v43, 0x3e9e377a, v34
	v_dual_fmac_f32 v49, 0x3e9e377a, v5 :: v_dual_fmac_f32 v14, 0x3e9e377a, v8
	v_fmac_f32_e32 v20, 0x3e9e377a, v13
	s_delay_alu instid0(VALU_DEP_2) | instskip(NEXT) | instid1(VALU_DEP_1)
	v_fma_f32 v21, 0x3f737871, v49, -v4
	v_dual_fmac_f32 v35, 0xbf737871, v46 :: v_dual_add_f32 v8, v16, v21
	s_delay_alu instid0(VALU_DEP_1) | instskip(NEXT) | instid1(VALU_DEP_1)
	v_dual_fmac_f32 v35, 0xbf167918, v48 :: v_dual_sub_f32 v16, v16, v21
	v_fmac_f32_e32 v35, 0x3e9e377a, v36
	s_delay_alu instid0(VALU_DEP_1) | instskip(NEXT) | instid1(VALU_DEP_1)
	v_mul_f32_e32 v5, 0x3f4f1bbd, v35
	v_fma_f32 v31, 0x3f167918, v38, -v5
	s_delay_alu instid0(VALU_DEP_1) | instskip(SKIP_1) | instid1(VALU_DEP_1)
	v_dual_fmac_f32 v7, 0x3f167918, v48 :: v_dual_add_f32 v10, v19, v31
	v_fmac_f32_e32 v11, 0xbf167918, v57
	v_fmac_f32_e32 v11, 0x3e9e377a, v40
	s_delay_alu instid0(VALU_DEP_1)
	v_mul_f32_e32 v12, 0x3f167918, v11
	v_fmac_f32_e32 v17, 0x3e9e377a, v3
	v_add_f32_e32 v1, v6, v9
	v_sub_f32_e32 v3, v6, v9
	v_mul_f32_e32 v6, 0x3e9e377a, v49
	v_mul_f32_e32 v9, 0x3f4f1bbd, v38
	s_delay_alu instid0(VALU_DEP_2) | instskip(SKIP_1) | instid1(VALU_DEP_3)
	v_fma_f32 v32, 0xbf737871, v18, -v6
	v_dual_sub_f32 v18, v19, v31 :: v_dual_fmac_f32 v7, 0x3e9e377a, v36
	v_fma_f32 v34, 0xbf167918, v35, -v9
	s_delay_alu instid0(VALU_DEP_3) | instskip(SKIP_1) | instid1(VALU_DEP_4)
	v_add_f32_e32 v9, v17, v32
	v_sub_f32_e32 v17, v17, v32
	v_mul_f32_e32 v15, 0xbf167918, v7
	v_dual_fmac_f32 v12, 0x3f4f1bbd, v7 :: v_dual_add_f32 v7, v44, v20
	v_sub_f32_e32 v19, v33, v34
	s_delay_alu instid0(VALU_DEP_2) | instskip(SKIP_1) | instid1(VALU_DEP_2)
	v_dual_fmac_f32 v15, 0x3f4f1bbd, v11 :: v_dual_add_f32 v4, v41, v12
	v_add_f32_e32 v11, v33, v34
	v_dual_sub_f32 v12, v41, v12 :: v_dual_add_f32 v5, v43, v15
	v_add_f32_e32 v6, v42, v14
	v_dual_sub_f32 v14, v42, v14 :: v_dual_sub_f32 v13, v43, v15
	v_sub_f32_e32 v15, v44, v20
	ds_store_2addr_b64 v30, v[0:1], v[4:5] offset1:143
	ds_store_2addr_b64 v25, v[6:7], v[8:9] offset0:30 offset1:173
	ds_store_2addr_b64 v28, v[10:11], v[2:3] offset0:60 offset1:203
	;; [unrolled: 1-line block ×4, first 2 shown]
	global_wb scope:SCOPE_SE
	s_wait_dscnt 0x0
	s_barrier_signal -1
	s_barrier_wait -1
	global_inv scope:SCOPE_SE
	ds_load_b64 v[2:3], v30
	v_lshlrev_b32_e32 v0, 3, v24
                                        ; implicit-def: $vgpr7
                                        ; implicit-def: $vgpr8
                                        ; implicit-def: $vgpr4_vgpr5
	s_delay_alu instid0(VALU_DEP_1)
	v_sub_nc_u32_e32 v6, 0, v0
                                        ; implicit-def: $vgpr0
	v_cmpx_ne_u32_e32 0, v24
	s_wait_alu 0xfffe
	s_xor_b32 s1, exec_lo, s1
	s_cbranch_execz .LBB0_21
; %bb.20:
	ds_load_b64 v[4:5], v6 offset:11440
	s_wait_dscnt 0x0
	v_dual_mov_b32 v25, 0 :: v_dual_add_f32 v8, v5, v3
	s_delay_alu instid0(VALU_DEP_1) | instskip(SKIP_2) | instid1(VALU_DEP_2)
	v_lshlrev_b64_e32 v[0:1], 3, v[24:25]
	v_dual_sub_f32 v7, v2, v4 :: v_dual_add_f32 v2, v4, v2
	v_sub_f32_e32 v3, v3, v5
	v_mul_f32_e32 v5, 0.5, v7
	s_delay_alu instid0(VALU_DEP_4)
	v_add_co_u32 v0, s0, s8, v0
	s_wait_alu 0xf1ff
	v_add_co_ci_u32_e64 v1, s0, s9, v1, s0
	v_mul_f32_e32 v3, 0.5, v3
	global_load_b64 v[0:1], v[0:1], off offset:11336
	s_wait_loadcnt 0x0
	v_dual_mul_f32 v9, 0.5, v8 :: v_dual_mul_f32 v4, v1, v5
	s_delay_alu instid0(VALU_DEP_1) | instskip(SKIP_1) | instid1(VALU_DEP_3)
	v_fma_f32 v8, v9, v1, v3
	v_fma_f32 v1, v9, v1, -v3
	v_fma_f32 v7, 0.5, v2, v4
	v_fma_f32 v2, v2, 0.5, -v4
	s_delay_alu instid0(VALU_DEP_4) | instskip(NEXT) | instid1(VALU_DEP_4)
	v_fma_f32 v8, -v0, v5, v8
	v_fma_f32 v1, -v0, v5, v1
	v_mov_b32_e32 v4, v24
	v_fmac_f32_e32 v7, v0, v9
	v_fma_f32 v0, -v0, v9, v2
	v_mov_b32_e32 v5, v25
                                        ; implicit-def: $vgpr2_vgpr3
.LBB0_21:
	s_wait_alu 0xfffe
	s_and_not1_saveexec_b32 s0, s1
	s_cbranch_execz .LBB0_23
; %bb.22:
	s_wait_dscnt 0x0
	v_dual_mov_b32 v8, 0 :: v_dual_add_f32 v7, v2, v3
	v_mov_b32_e32 v4, 0
	v_dual_sub_f32 v0, v2, v3 :: v_dual_mov_b32 v5, 0
	ds_load_b32 v1, v8 offset:5724
	s_wait_dscnt 0x0
	v_xor_b32_e32 v2, 0x80000000, v1
	v_mov_b32_e32 v1, 0
	ds_store_b32 v8, v2 offset:5724
.LBB0_23:
	s_wait_alu 0xfffe
	s_or_b32 exec_lo, exec_lo, s0
	s_wait_dscnt 0x0
	v_lshlrev_b64_e32 v[2:3], 3, v[4:5]
	s_add_nc_u64 s[0:1], s[8:9], 0x2c48
	s_wait_alu 0xfffe
	s_delay_alu instid0(VALU_DEP_1) | instskip(SKIP_1) | instid1(VALU_DEP_2)
	v_add_co_u32 v2, s0, s0, v2
	s_wait_alu 0xf1ff
	v_add_co_ci_u32_e64 v3, s0, s1, v3, s0
	s_clause 0x3
	global_load_b64 v[4:5], v[2:3], off offset:1144
	global_load_b64 v[9:10], v[2:3], off offset:2288
	global_load_b64 v[11:12], v[2:3], off offset:3432
	global_load_b64 v[2:3], v[2:3], off offset:4576
	ds_store_2addr_b32 v30, v7, v8 offset1:1
	ds_store_b64 v6, v[0:1] offset:11440
	ds_load_b64 v[0:1], v30 offset:1144
	ds_load_b64 v[7:8], v6 offset:10296
	s_wait_dscnt 0x0
	v_dual_sub_f32 v13, v0, v7 :: v_dual_add_f32 v14, v1, v8
	v_dual_sub_f32 v1, v1, v8 :: v_dual_add_f32 v0, v0, v7
	s_delay_alu instid0(VALU_DEP_2) | instskip(NEXT) | instid1(VALU_DEP_2)
	v_dual_mul_f32 v8, 0.5, v13 :: v_dual_mul_f32 v13, 0.5, v14
	v_mul_f32_e32 v1, 0.5, v1
	s_wait_loadcnt 0x3
	s_delay_alu instid0(VALU_DEP_2) | instskip(NEXT) | instid1(VALU_DEP_2)
	v_mul_f32_e32 v7, v5, v8
	v_fma_f32 v14, v13, v5, v1
	v_fma_f32 v1, v13, v5, -v1
	s_delay_alu instid0(VALU_DEP_3)
	v_fma_f32 v5, 0.5, v0, v7
	v_fma_f32 v0, v0, 0.5, -v7
	v_add_nc_u32_e32 v7, 0x400, v30
	v_fma_f32 v14, -v4, v8, v14
	v_fma_f32 v1, -v4, v8, v1
	v_fmac_f32_e32 v5, v4, v13
	v_fma_f32 v0, -v4, v13, v0
	ds_store_2addr_b32 v7, v5, v14 offset0:30 offset1:31
	ds_store_b64 v6, v[0:1] offset:10296
	ds_load_b64 v[0:1], v30 offset:2288
	ds_load_b64 v[4:5], v6 offset:9152
	s_wait_dscnt 0x0
	v_dual_sub_f32 v7, v0, v4 :: v_dual_add_f32 v8, v1, v5
	v_dual_sub_f32 v1, v1, v5 :: v_dual_add_f32 v0, v0, v4
	s_delay_alu instid0(VALU_DEP_2) | instskip(NEXT) | instid1(VALU_DEP_3)
	v_mul_f32_e32 v5, 0.5, v7
	v_mul_f32_e32 v7, 0.5, v8
	s_delay_alu instid0(VALU_DEP_3) | instskip(SKIP_1) | instid1(VALU_DEP_3)
	v_mul_f32_e32 v1, 0.5, v1
	s_wait_loadcnt 0x2
	v_mul_f32_e32 v4, v10, v5
	s_delay_alu instid0(VALU_DEP_2) | instskip(SKIP_1) | instid1(VALU_DEP_3)
	v_fma_f32 v8, v7, v10, v1
	v_fma_f32 v1, v7, v10, -v1
	v_fma_f32 v10, 0.5, v0, v4
	v_fma_f32 v0, v0, 0.5, -v4
	v_add_nc_u32_e32 v4, 0x800, v30
	v_fma_f32 v8, -v9, v5, v8
	v_fma_f32 v1, -v9, v5, v1
	v_fmac_f32_e32 v10, v9, v7
	v_fma_f32 v0, -v9, v7, v0
	ds_store_2addr_b32 v4, v10, v8 offset0:60 offset1:61
	ds_store_b64 v6, v[0:1] offset:9152
	ds_load_b64 v[0:1], v30 offset:3432
	ds_load_b64 v[4:5], v6 offset:8008
	s_wait_dscnt 0x0
	v_dual_sub_f32 v7, v0, v4 :: v_dual_add_f32 v8, v1, v5
	v_dual_sub_f32 v1, v1, v5 :: v_dual_add_f32 v0, v0, v4
	s_delay_alu instid0(VALU_DEP_2) | instskip(NEXT) | instid1(VALU_DEP_3)
	v_mul_f32_e32 v5, 0.5, v7
	v_mul_f32_e32 v7, 0.5, v8
	s_delay_alu instid0(VALU_DEP_3) | instskip(SKIP_1) | instid1(VALU_DEP_3)
	v_mul_f32_e32 v1, 0.5, v1
	s_wait_loadcnt 0x1
	v_mul_f32_e32 v4, v12, v5
	s_delay_alu instid0(VALU_DEP_2) | instskip(SKIP_1) | instid1(VALU_DEP_3)
	v_fma_f32 v8, v7, v12, v1
	v_fma_f32 v1, v7, v12, -v1
	;; [unrolled: 24-line block ×3, first 2 shown]
	v_fma_f32 v3, 0.5, v0, v4
	v_fma_f32 v0, v0, 0.5, -v4
	v_add_nc_u32_e32 v4, 0x1000, v30
	v_fma_f32 v8, -v2, v5, v8
	v_fma_f32 v1, -v2, v5, v1
	v_fmac_f32_e32 v3, v2, v7
	v_fma_f32 v0, -v2, v7, v0
	ds_store_2addr_b32 v4, v3, v8 offset0:120 offset1:121
	ds_store_b64 v6, v[0:1] offset:6864
	global_wb scope:SCOPE_SE
	s_wait_dscnt 0x0
	s_barrier_signal -1
	s_barrier_wait -1
	global_inv scope:SCOPE_SE
	s_and_saveexec_b32 s0, vcc_lo
	s_cbranch_execz .LBB0_26
; %bb.24:
	v_mul_lo_u32 v2, s3, v26
	v_mul_lo_u32 v3, s2, v27
	v_mad_co_u64_u32 v[0:1], null, s2, v26, 0
	v_dual_mov_b32 v25, 0 :: v_dual_add_nc_u32 v8, 0x8f, v24
	v_lshl_add_u32 v26, v24, 3, 0
	v_lshlrev_b64_e32 v[6:7], 3, v[22:23]
	s_delay_alu instid0(VALU_DEP_3) | instskip(SKIP_1) | instid1(VALU_DEP_4)
	v_dual_mov_b32 v9, v25 :: v_dual_add_nc_u32 v10, 0x11e, v24
	v_add3_u32 v1, v1, v3, v2
	v_dual_mov_b32 v11, v25 :: v_dual_add_nc_u32 v16, 0x800, v26
	ds_load_2addr_b64 v[2:5], v26 offset1:143
	v_lshlrev_b64_e32 v[12:13], 3, v[24:25]
	v_lshlrev_b64_e32 v[0:1], 3, v[0:1]
	;; [unrolled: 1-line block ×4, first 2 shown]
	v_dual_mov_b32 v19, v25 :: v_dual_add_nc_u32 v18, 0x23c, v24
	v_dual_mov_b32 v21, v25 :: v_dual_add_nc_u32 v22, 0x1000, v26
	v_add_co_u32 v0, vcc_lo, s6, v0
	s_wait_alu 0xfffd
	v_add_co_ci_u32_e32 v1, vcc_lo, s7, v1, vcc_lo
	v_mov_b32_e32 v17, v25
	s_delay_alu instid0(VALU_DEP_3) | instskip(SKIP_1) | instid1(VALU_DEP_3)
	v_add_co_u32 v0, vcc_lo, v0, v6
	s_wait_alu 0xfffd
	v_add_co_ci_u32_e32 v1, vcc_lo, v1, v7, vcc_lo
	ds_load_2addr_b64 v[6:9], v16 offset0:30 offset1:173
	v_add_nc_u32_e32 v16, 0x1ad, v24
	v_add_co_u32 v12, vcc_lo, v0, v12
	s_wait_alu 0xfffd
	v_add_co_ci_u32_e32 v13, vcc_lo, v1, v13, vcc_lo
	v_add_co_u32 v14, vcc_lo, v0, v14
	v_lshlrev_b64_e32 v[16:17], 3, v[16:17]
	s_wait_alu 0xfffd
	v_add_co_ci_u32_e32 v15, vcc_lo, v1, v15, vcc_lo
	v_add_co_u32 v10, vcc_lo, v0, v10
	s_wait_alu 0xfffd
	v_add_co_ci_u32_e32 v11, vcc_lo, v1, v11, vcc_lo
	v_add_co_u32 v16, vcc_lo, v0, v16
	v_add_nc_u32_e32 v20, 0x2cb, v24
	s_wait_alu 0xfffd
	v_add_co_ci_u32_e32 v17, vcc_lo, v1, v17, vcc_lo
	v_lshlrev_b64_e32 v[18:19], 3, v[18:19]
	s_wait_dscnt 0x1
	s_clause 0x1
	global_store_b64 v[12:13], v[2:3], off
	global_store_b64 v[14:15], v[4:5], off
	s_wait_dscnt 0x0
	s_clause 0x1
	global_store_b64 v[10:11], v[6:7], off
	global_store_b64 v[16:17], v[8:9], off
	v_dual_mov_b32 v11, v25 :: v_dual_add_nc_u32 v10, 0x35a, v24
	v_mov_b32_e32 v13, v25
	v_lshlrev_b64_e32 v[6:7], 3, v[20:21]
	v_add_co_u32 v14, vcc_lo, v0, v18
	s_delay_alu instid0(VALU_DEP_4)
	v_lshlrev_b64_e32 v[10:11], 3, v[10:11]
	s_wait_alu 0xfffd
	v_add_co_ci_u32_e32 v15, vcc_lo, v1, v19, vcc_lo
	v_dual_mov_b32 v27, v25 :: v_dual_add_nc_u32 v12, 0x3e9, v24
	v_dual_mov_b32 v19, v25 :: v_dual_add_nc_u32 v8, 0x1800, v26
	v_add_co_u32 v16, vcc_lo, v0, v6
	v_add_nc_u32_e32 v26, 0x2200, v26
	s_wait_alu 0xfffd
	v_add_co_ci_u32_e32 v17, vcc_lo, v1, v7, vcc_lo
	v_add_nc_u32_e32 v18, 0x478, v24
	v_add_co_u32 v20, vcc_lo, v0, v10
	ds_load_2addr_b64 v[2:5], v22 offset0:60 offset1:203
	v_lshlrev_b64_e32 v[22:23], 3, v[12:13]
	s_wait_alu 0xfffd
	v_add_co_ci_u32_e32 v21, vcc_lo, v1, v11, vcc_lo
	ds_load_2addr_b64 v[10:13], v26 offset0:56 offset1:199
	v_add_nc_u32_e32 v26, 0x507, v24
	ds_load_2addr_b64 v[6:9], v8 offset0:90 offset1:233
	v_lshlrev_b64_e32 v[18:19], 3, v[18:19]
	v_add_co_u32 v22, vcc_lo, v0, v22
	v_lshlrev_b64_e32 v[26:27], 3, v[26:27]
	s_wait_alu 0xfffd
	v_add_co_ci_u32_e32 v23, vcc_lo, v1, v23, vcc_lo
	s_delay_alu instid0(VALU_DEP_4)
	v_add_co_u32 v18, vcc_lo, v0, v18
	s_wait_alu 0xfffd
	v_add_co_ci_u32_e32 v19, vcc_lo, v1, v19, vcc_lo
	v_add_co_u32 v26, vcc_lo, v0, v26
	s_wait_alu 0xfffd
	v_add_co_ci_u32_e32 v27, vcc_lo, v1, v27, vcc_lo
	v_cmp_eq_u32_e32 vcc_lo, 0x8e, v24
	s_wait_dscnt 0x2
	s_clause 0x1
	global_store_b64 v[14:15], v[2:3], off
	global_store_b64 v[16:17], v[4:5], off
	s_wait_dscnt 0x0
	s_clause 0x3
	global_store_b64 v[20:21], v[6:7], off
	global_store_b64 v[22:23], v[8:9], off
	;; [unrolled: 1-line block ×4, first 2 shown]
	s_and_b32 exec_lo, exec_lo, vcc_lo
	s_cbranch_execz .LBB0_26
; %bb.25:
	ds_load_b64 v[2:3], v25 offset:11440
	s_wait_dscnt 0x0
	global_store_b64 v[0:1], v[2:3], off offset:11440
.LBB0_26:
	s_nop 0
	s_sendmsg sendmsg(MSG_DEALLOC_VGPRS)
	s_endpgm
	.section	.rodata,"a",@progbits
	.p2align	6, 0x0
	.amdhsa_kernel fft_rtc_fwd_len1430_factors_13_11_10_wgs_143_tpt_143_sp_op_CI_CI_unitstride_sbrr_R2C_dirReg
		.amdhsa_group_segment_fixed_size 0
		.amdhsa_private_segment_fixed_size 0
		.amdhsa_kernarg_size 104
		.amdhsa_user_sgpr_count 2
		.amdhsa_user_sgpr_dispatch_ptr 0
		.amdhsa_user_sgpr_queue_ptr 0
		.amdhsa_user_sgpr_kernarg_segment_ptr 1
		.amdhsa_user_sgpr_dispatch_id 0
		.amdhsa_user_sgpr_private_segment_size 0
		.amdhsa_wavefront_size32 1
		.amdhsa_uses_dynamic_stack 0
		.amdhsa_enable_private_segment 0
		.amdhsa_system_sgpr_workgroup_id_x 1
		.amdhsa_system_sgpr_workgroup_id_y 0
		.amdhsa_system_sgpr_workgroup_id_z 0
		.amdhsa_system_sgpr_workgroup_info 0
		.amdhsa_system_vgpr_workitem_id 0
		.amdhsa_next_free_vgpr 126
		.amdhsa_next_free_sgpr 39
		.amdhsa_reserve_vcc 1
		.amdhsa_float_round_mode_32 0
		.amdhsa_float_round_mode_16_64 0
		.amdhsa_float_denorm_mode_32 3
		.amdhsa_float_denorm_mode_16_64 3
		.amdhsa_fp16_overflow 0
		.amdhsa_workgroup_processor_mode 1
		.amdhsa_memory_ordered 1
		.amdhsa_forward_progress 0
		.amdhsa_round_robin_scheduling 0
		.amdhsa_exception_fp_ieee_invalid_op 0
		.amdhsa_exception_fp_denorm_src 0
		.amdhsa_exception_fp_ieee_div_zero 0
		.amdhsa_exception_fp_ieee_overflow 0
		.amdhsa_exception_fp_ieee_underflow 0
		.amdhsa_exception_fp_ieee_inexact 0
		.amdhsa_exception_int_div_zero 0
	.end_amdhsa_kernel
	.text
.Lfunc_end0:
	.size	fft_rtc_fwd_len1430_factors_13_11_10_wgs_143_tpt_143_sp_op_CI_CI_unitstride_sbrr_R2C_dirReg, .Lfunc_end0-fft_rtc_fwd_len1430_factors_13_11_10_wgs_143_tpt_143_sp_op_CI_CI_unitstride_sbrr_R2C_dirReg
                                        ; -- End function
	.section	.AMDGPU.csdata,"",@progbits
; Kernel info:
; codeLenInByte = 10892
; NumSgprs: 41
; NumVgprs: 126
; ScratchSize: 0
; MemoryBound: 0
; FloatMode: 240
; IeeeMode: 1
; LDSByteSize: 0 bytes/workgroup (compile time only)
; SGPRBlocks: 5
; VGPRBlocks: 15
; NumSGPRsForWavesPerEU: 41
; NumVGPRsForWavesPerEU: 126
; Occupancy: 10
; WaveLimiterHint : 1
; COMPUTE_PGM_RSRC2:SCRATCH_EN: 0
; COMPUTE_PGM_RSRC2:USER_SGPR: 2
; COMPUTE_PGM_RSRC2:TRAP_HANDLER: 0
; COMPUTE_PGM_RSRC2:TGID_X_EN: 1
; COMPUTE_PGM_RSRC2:TGID_Y_EN: 0
; COMPUTE_PGM_RSRC2:TGID_Z_EN: 0
; COMPUTE_PGM_RSRC2:TIDIG_COMP_CNT: 0
	.text
	.p2alignl 7, 3214868480
	.fill 96, 4, 3214868480
	.type	__hip_cuid_1b2adc86a667bac1,@object ; @__hip_cuid_1b2adc86a667bac1
	.section	.bss,"aw",@nobits
	.globl	__hip_cuid_1b2adc86a667bac1
__hip_cuid_1b2adc86a667bac1:
	.byte	0                               ; 0x0
	.size	__hip_cuid_1b2adc86a667bac1, 1

	.ident	"AMD clang version 19.0.0git (https://github.com/RadeonOpenCompute/llvm-project roc-6.4.0 25133 c7fe45cf4b819c5991fe208aaa96edf142730f1d)"
	.section	".note.GNU-stack","",@progbits
	.addrsig
	.addrsig_sym __hip_cuid_1b2adc86a667bac1
	.amdgpu_metadata
---
amdhsa.kernels:
  - .args:
      - .actual_access:  read_only
        .address_space:  global
        .offset:         0
        .size:           8
        .value_kind:     global_buffer
      - .offset:         8
        .size:           8
        .value_kind:     by_value
      - .actual_access:  read_only
        .address_space:  global
        .offset:         16
        .size:           8
        .value_kind:     global_buffer
      - .actual_access:  read_only
        .address_space:  global
        .offset:         24
        .size:           8
        .value_kind:     global_buffer
      - .actual_access:  read_only
        .address_space:  global
        .offset:         32
        .size:           8
        .value_kind:     global_buffer
      - .offset:         40
        .size:           8
        .value_kind:     by_value
      - .actual_access:  read_only
        .address_space:  global
        .offset:         48
        .size:           8
        .value_kind:     global_buffer
      - .actual_access:  read_only
        .address_space:  global
        .offset:         56
        .size:           8
        .value_kind:     global_buffer
      - .offset:         64
        .size:           4
        .value_kind:     by_value
      - .actual_access:  read_only
        .address_space:  global
        .offset:         72
        .size:           8
        .value_kind:     global_buffer
      - .actual_access:  read_only
        .address_space:  global
        .offset:         80
        .size:           8
        .value_kind:     global_buffer
      - .actual_access:  read_only
        .address_space:  global
        .offset:         88
        .size:           8
        .value_kind:     global_buffer
      - .actual_access:  write_only
        .address_space:  global
        .offset:         96
        .size:           8
        .value_kind:     global_buffer
    .group_segment_fixed_size: 0
    .kernarg_segment_align: 8
    .kernarg_segment_size: 104
    .language:       OpenCL C
    .language_version:
      - 2
      - 0
    .max_flat_workgroup_size: 143
    .name:           fft_rtc_fwd_len1430_factors_13_11_10_wgs_143_tpt_143_sp_op_CI_CI_unitstride_sbrr_R2C_dirReg
    .private_segment_fixed_size: 0
    .sgpr_count:     41
    .sgpr_spill_count: 0
    .symbol:         fft_rtc_fwd_len1430_factors_13_11_10_wgs_143_tpt_143_sp_op_CI_CI_unitstride_sbrr_R2C_dirReg.kd
    .uniform_work_group_size: 1
    .uses_dynamic_stack: false
    .vgpr_count:     126
    .vgpr_spill_count: 0
    .wavefront_size: 32
    .workgroup_processor_mode: 1
amdhsa.target:   amdgcn-amd-amdhsa--gfx1201
amdhsa.version:
  - 1
  - 2
...

	.end_amdgpu_metadata
